;; amdgpu-corpus repo=ROCm/Tensile kind=harvested arch=n/a opt=n/a

/******************************************/
/* Function Prefix                        */
/******************************************/



/******************************************/
/* Begin Kernel                           */
/******************************************/

// Component.Signature.SignatureDefault
.amdgcn_target "amdgcn-amd-amdhsa--gfx942"
.text
.protected Cijk_Ailk_Bjlk_HHS_BH_MT192x128x32_MI32x32x8x1_SN_1LDSB0_APM1_AF0EM1_AF1EM1_AMAS0_ASE_ASGT_ASLT_ASM_ASAE01_ASCE01_ASEM1_BL1_BS1_CLR1_DTVA0_DTVB0_ETSP_EPS1_ELFLR0_EMLL0_FSSC10_FL0_GLVWA8_GLVWB8_GRCGA1_GRPM1_GRVW8_GSU38_GSUAMB_GLS0_IU1_K1_LBSPPA0_LBSPPB0_LPA0_LPB0_LRVW4_LWPMn1_MIAV1_MKFGSU256_NTA0_NTB0_NTC0_NTD0_NEPBS0_NLCA3_NLCB1_ONLL1_PGR2_PLR5_PKA0_SIA3_SLW1_SS0_SU32_SUM0_SUS256_SPO0_SRVW0_SSO0_SVW4_TSGRA0_TSGRB0_TT3_64_TLDS0_UMLDSA0_UMLDSB0_USFGROn1_VAW1_VSn1_VW1_VWB2_VFLRP1_WSGRA0_WSGRB0_WG64_4_1_WGM30
.globl Cijk_Ailk_Bjlk_HHS_BH_MT192x128x32_MI32x32x8x1_SN_1LDSB0_APM1_AF0EM1_AF1EM1_AMAS0_ASE_ASGT_ASLT_ASM_ASAE01_ASCE01_ASEM1_BL1_BS1_CLR1_DTVA0_DTVB0_ETSP_EPS1_ELFLR0_EMLL0_FSSC10_FL0_GLVWA8_GLVWB8_GRCGA1_GRPM1_GRVW8_GSU38_GSUAMB_GLS0_IU1_K1_LBSPPA0_LBSPPB0_LPA0_LPB0_LRVW4_LWPMn1_MIAV1_MKFGSU256_NTA0_NTB0_NTC0_NTD0_NEPBS0_NLCA3_NLCB1_ONLL1_PGR2_PLR5_PKA0_SIA3_SLW1_SS0_SU32_SUM0_SUS256_SPO0_SRVW0_SSO0_SVW4_TSGRA0_TSGRB0_TT3_64_TLDS0_UMLDSA0_UMLDSB0_USFGROn1_VAW1_VSn1_VW1_VWB2_VFLRP1_WSGRA0_WSGRB0_WG64_4_1_WGM30
.p2align 8
.type Cijk_Ailk_Bjlk_HHS_BH_MT192x128x32_MI32x32x8x1_SN_1LDSB0_APM1_AF0EM1_AF1EM1_AMAS0_ASE_ASGT_ASLT_ASM_ASAE01_ASCE01_ASEM1_BL1_BS1_CLR1_DTVA0_DTVB0_ETSP_EPS1_ELFLR0_EMLL0_FSSC10_FL0_GLVWA8_GLVWB8_GRCGA1_GRPM1_GRVW8_GSU38_GSUAMB_GLS0_IU1_K1_LBSPPA0_LBSPPB0_LPA0_LPB0_LRVW4_LWPMn1_MIAV1_MKFGSU256_NTA0_NTB0_NTC0_NTD0_NEPBS0_NLCA3_NLCB1_ONLL1_PGR2_PLR5_PKA0_SIA3_SLW1_SS0_SU32_SUM0_SUS256_SPO0_SRVW0_SSO0_SVW4_TSGRA0_TSGRB0_TT3_64_TLDS0_UMLDSA0_UMLDSB0_USFGROn1_VAW1_VSn1_VW1_VWB2_VFLRP1_WSGRA0_WSGRB0_WG64_4_1_WGM30,@function
.section .rodata,#alloc
.p2align 6
.amdhsa_kernel Cijk_Ailk_Bjlk_HHS_BH_MT192x128x32_MI32x32x8x1_SN_1LDSB0_APM1_AF0EM1_AF1EM1_AMAS0_ASE_ASGT_ASLT_ASM_ASAE01_ASCE01_ASEM1_BL1_BS1_CLR1_DTVA0_DTVB0_ETSP_EPS1_ELFLR0_EMLL0_FSSC10_FL0_GLVWA8_GLVWB8_GRCGA1_GRPM1_GRVW8_GSU38_GSUAMB_GLS0_IU1_K1_LBSPPA0_LBSPPB0_LPA0_LPB0_LRVW4_LWPMn1_MIAV1_MKFGSU256_NTA0_NTB0_NTC0_NTD0_NEPBS0_NLCA3_NLCB1_ONLL1_PGR2_PLR5_PKA0_SIA3_SLW1_SS0_SU32_SUM0_SUS256_SPO0_SRVW0_SSO0_SVW4_TSGRA0_TSGRB0_TT3_64_TLDS0_UMLDSA0_UMLDSB0_USFGROn1_VAW1_VSn1_VW1_VWB2_VFLRP1_WSGRA0_WSGRB0_WG64_4_1_WGM30
  .amdhsa_user_sgpr_kernarg_segment_ptr 1
  .amdhsa_user_sgpr_kernarg_preload_offset 0
  .amdhsa_user_sgpr_kernarg_preload_length 0
  .amdhsa_user_sgpr_count 2
  .amdhsa_accum_offset 256 // accvgpr offset
  .amdhsa_next_free_vgpr 256 // vgprs
  .amdhsa_next_free_sgpr 68 // sgprs
  .amdhsa_group_segment_fixed_size 53248 // lds bytes
  .amdhsa_private_segment_fixed_size 0
  .amdhsa_system_sgpr_workgroup_id_x 1
  .amdhsa_system_sgpr_workgroup_id_y 1
  .amdhsa_system_sgpr_workgroup_id_z 1
  .amdhsa_system_vgpr_workitem_id 0
  .amdhsa_float_denorm_mode_32 3
  .amdhsa_float_denorm_mode_16_64 3
.end_amdhsa_kernel
.text

/******************************************/
/* Optimizations and Config:              */
/******************************************/
/* ThreadTile= 48 x 2 */
/* SubGroup= 4 x 64 */
/* VectorWidthA=1 */
/* VectorWidthB=2 */
/* GlobalLoadVectorWidthA=8, GlobalLoadVectorWidthB=8 */
/* DirectToLdsA=False */
/* DirectToLdsB=False */
/* UseSgprForGRO=False */
.amdgpu_metadata
---
amdhsa.version:
  - 1
  - 1
amdhsa.target: amdgcn-amd-amdhsa--gfx942
amdhsa.kernels:
  - .name: Cijk_Ailk_Bjlk_HHS_BH_MT192x128x32_MI32x32x8x1_SN_1LDSB0_APM1_AF0EM1_AF1EM1_AMAS0_ASE_ASGT_ASLT_ASM_ASAE01_ASCE01_ASEM1_BL1_BS1_CLR1_DTVA0_DTVB0_ETSP_EPS1_ELFLR0_EMLL0_FSSC10_FL0_GLVWA8_GLVWB8_GRCGA1_GRPM1_GRVW8_GSU38_GSUAMB_GLS0_IU1_K1_LBSPPA0_LBSPPB0_LPA0_LPB0_LRVW4_LWPMn1_MIAV1_MKFGSU256_NTA0_NTB0_NTC0_NTD0_NEPBS0_NLCA3_NLCB1_ONLL1_PGR2_PLR5_PKA0_SIA3_SLW1_SS0_SU32_SUM0_SUS256_SPO0_SRVW0_SSO0_SVW4_TSGRA0_TSGRB0_TT3_64_TLDS0_UMLDSA0_UMLDSB0_USFGROn1_VAW1_VSn1_VW1_VWB2_VFLRP1_WSGRA0_WSGRB0_WG64_4_1_WGM30
    .symbol: 'Cijk_Ailk_Bjlk_HHS_BH_MT192x128x32_MI32x32x8x1_SN_1LDSB0_APM1_AF0EM1_AF1EM1_AMAS0_ASE_ASGT_ASLT_ASM_ASAE01_ASCE01_ASEM1_BL1_BS1_CLR1_DTVA0_DTVB0_ETSP_EPS1_ELFLR0_EMLL0_FSSC10_FL0_GLVWA8_GLVWB8_GRCGA1_GRPM1_GRVW8_GSU38_GSUAMB_GLS0_IU1_K1_LBSPPA0_LBSPPB0_LPA0_LPB0_LRVW4_LWPMn1_MIAV1_MKFGSU256_NTA0_NTB0_NTC0_NTD0_NEPBS0_NLCA3_NLCB1_ONLL1_PGR2_PLR5_PKA0_SIA3_SLW1_SS0_SU32_SUM0_SUS256_SPO0_SRVW0_SSO0_SVW4_TSGRA0_TSGRB0_TT3_64_TLDS0_UMLDSA0_UMLDSB0_USFGROn1_VAW1_VSn1_VW1_VWB2_VFLRP1_WSGRA0_WSGRB0_WG64_4_1_WGM30.kd'
    .language:                   OpenCL C
    .language_version:
      - 2
      - 0
    .args:
      - .name:            Tensor2dSizeA
        .size:            8
        .offset:          0
        .value_kind:      by_value
        .value_type:      u64
      - .name:            Tensor2dSizeB
        .size:            8
        .offset:          8
        .value_kind:      by_value
        .value_type:      u64
      - .name:            AddressD
        .size:            8
        .offset:          16
        .value_kind:      by_value
        .value_type:      u64
      - .name:            AddressC
        .size:            8
        .offset:          24
        .value_kind:      by_value
        .value_type:      u64
      - .name:            AddressA
        .size:            8
        .offset:          32
        .value_kind:      by_value
        .value_type:      u64
      - .name:            AddressB
        .size:            8
        .offset:          40
        .value_kind:      by_value
        .value_type:      u64
      - .name:            Alpha
        .size:            4
        .offset:          48
        .value_kind:      by_value
        .value_type:      u32
      - .name:            Beta
        .size:            4
        .offset:          52
        .value_kind:      by_value
        .value_type:      u32
      - .name:            StridesD
        .size:            8
        .offset:          56
        .value_kind:      by_value
        .value_type:      u64
      - .name:            StridesC
        .size:            8
        .offset:          64
        .value_kind:      by_value
        .value_type:      u64
      - .name:            StridesA
        .size:            8
        .offset:          72
        .value_kind:      by_value
        .value_type:      u64
      - .name:            StridesB
        .size:            8
        .offset:          80
        .value_kind:      by_value
        .value_type:      u64
      - .name:            SizesFree
        .size:            12
        .offset:          88
        .value_kind:      by_value
        .value_type:      u96
      - .name:            SizesSum
        .size:            4
        .offset:          100
        .value_kind:      by_value
        .value_type:      u32
      - .name:            OrigStaggerUIter
        .size:            4
        .offset:          104
        .value_kind:      by_value
        .value_type:      u32
      - .name:            NumWorkGroups0
        .size:            4
        .offset:          108
        .value_kind:      by_value
        .value_type:      u32
      - .name:            NumWorkGroups1
        .size:            4
        .offset:          112
        .value_kind:      by_value
        .value_type:      u32
      - .name:            NumFullBlocks
        .size:            4
        .offset:          116
        .value_kind:      by_value
        .value_type:      u32
      - .name:            WgmRemainder1
        .size:            4
        .offset:          120
        .value_kind:      by_value
        .value_type:      u32
      - .name:            MagicNumberWgmRemainder1
        .size:            4
        .offset:          124
        .value_kind:      by_value
        .value_type:      u32
    .group_segment_fixed_size:   53248
    .kernarg_segment_align:      8
    .kernarg_segment_size:       128
    .max_flat_workgroup_size:    256
    .private_segment_fixed_size: 0
    .sgpr_count:                 68
    .sgpr_spill_count:           0
    .vgpr_count:                 256
    .vgpr_spill_count:           0
    .wavefront_size:             64
...
.end_amdgpu_metadata
Cijk_Ailk_Bjlk_HHS_BH_MT192x128x32_MI32x32x8x1_SN_1LDSB0_APM1_AF0EM1_AF1EM1_AMAS0_ASE_ASGT_ASLT_ASM_ASAE01_ASCE01_ASEM1_BL1_BS1_CLR1_DTVA0_DTVB0_ETSP_EPS1_ELFLR0_EMLL0_FSSC10_FL0_GLVWA8_GLVWB8_GRCGA1_GRPM1_GRVW8_GSU38_GSUAMB_GLS0_IU1_K1_LBSPPA0_LBSPPB0_LPA0_LPB0_LRVW4_LWPMn1_MIAV1_MKFGSU256_NTA0_NTB0_NTC0_NTD0_NEPBS0_NLCA3_NLCB1_ONLL1_PGR2_PLR5_PKA0_SIA3_SLW1_SS0_SU32_SUM0_SUS256_SPO0_SRVW0_SSO0_SVW4_TSGRA0_TSGRB0_TT3_64_TLDS0_UMLDSA0_UMLDSB0_USFGROn1_VAW1_VSn1_VW1_VWB2_VFLRP1_WSGRA0_WSGRB0_WG64_4_1_WGM30:

/******************************************/
/* Asm syntax workarounds                 */
/******************************************/
.macro _v_add_co_u32 dst:req, cc:req, src0:req, src1:req, dpp=
   v_add_co_u32 \dst, \cc, \src0, \src1 \dpp
.endm

.macro _v_add_u32 dst:req, src0:req, src1:req, dpp=
   v_add_u32 \dst, \src0, \src1 \dpp
.endm

.macro _v_add_i32 dst:req, src0:req, src1:req, dpp=
   v_add_i32 \dst, \src0, \src1 \dpp
.endm

.macro _v_addc_co_u32 dst:req, ccOut:req, src0:req, ccIn:req, src1:req, dpp=
   v_addc_co_u32 \dst, \ccOut, \src0, \ccIn, \src1 \dpp
.endm

.macro _v_sub_co_u32 dst:req, cc:req, src0:req, src1:req, dpp=
   v_sub_co_u32 \dst, \cc, \src0, \src1 \dpp
.endm

.macro _v_sub_u32 dst:req, src0:req, src1:req, dpp=
   v_sub_u32 \dst, \src0, \src1 \dpp
.endm

.macro _v_sub_i32 dst:req, src0:req, src1:req, dpp=
   v_sub_i32 \dst, \src0, \src1 \dpp
.endm

.macro _v_add_lshl_u32 dst:req, src0:req, src1:req, shiftCnt:req
    v_add_lshl_u32 \dst, \src0, \src1, \shiftCnt
.endm

.macro _v_lshl_add_u32 dst:req, src0:req, src1:req, shiftCnt:req
    v_lshl_add_u32 \dst, \src0, \src1, \shiftCnt
.endm

.macro _v_lshl_or_b32 dst:req, src0:req, shiftCnt:req, src1:req
    v_lshl_or_b32 \dst, \src0, \shiftCnt, \src1
.endm

.macro _v_dot2acc_f32_f16 dst, src0, src1
v_dot2c_f32_f16 \dst, \src0, \src1
.endm

.macro _v_cmpx_lt_i16 dst, src0, src1=
   v_cmpx_lt_i16 \dst, \src0, \src1 
.endm

.macro _v_cmpx_lt_i32 dst, src0, src1=
   v_cmpx_lt_i32 \dst, \src0, \src1 
.endm

.macro _v_cmpx_lt_i64 dst, src0, src1=
   v_cmpx_lt_i64 \dst, \src0, \src1 
.endm

.macro _v_cmpx_lt_u16 dst, src0, src1=
   v_cmpx_lt_u16 \dst, \src0, \src1 
.endm

.macro _v_cmpx_lt_u32 dst, src0, src1=
   v_cmpx_lt_u32 \dst, \src0, \src1 
.endm

.macro _v_cmpx_lt_u64 dst, src0, src1=
   v_cmpx_lt_u64 \dst, \src0, \src1 
.endm

.macro _v_cmpx_eq_i16 dst, src0, src1=
   v_cmpx_eq_i16 \dst, \src0, \src1 
.endm

.macro _v_cmpx_eq_i32 dst, src0, src1=
   v_cmpx_eq_i32 \dst, \src0, \src1 
.endm

.macro _v_cmpx_eq_i64 dst, src0, src1=
   v_cmpx_eq_i64 \dst, \src0, \src1 
.endm

.macro _v_cmpx_eq_u16 dst, src0, src1=
   v_cmpx_eq_u16 \dst, \src0, \src1 
.endm

.macro _v_cmpx_eq_u32 dst, src0, src1=
   v_cmpx_eq_u32 \dst, \src0, \src1 
.endm

.macro _v_cmpx_eq_u64 dst, src0, src1=
   v_cmpx_eq_u64 \dst, \src0, \src1 
.endm

.macro _v_cmpx_le_i16 dst, src0, src1=
   v_cmpx_le_i16 \dst, \src0, \src1 
.endm

.macro _v_cmpx_le_i32 dst, src0, src1=
   v_cmpx_le_i32 \dst, \src0, \src1 
.endm

.macro _v_cmpx_le_i64 dst, src0, src1=
   v_cmpx_le_i64 \dst, \src0, \src1 
.endm

.macro _v_cmpx_le_u16 dst, src0, src1=
   v_cmpx_le_u16 \dst, \src0, \src1 
.endm

.macro _v_cmpx_le_u32 dst, src0, src1=
   v_cmpx_le_u32 \dst, \src0, \src1 
.endm

.macro _v_cmpx_le_u64 dst, src0, src1=
   v_cmpx_le_u64 \dst, \src0, \src1 
.endm

.macro _v_cmpx_gt_i16 dst, src0, src1=
   v_cmpx_gt_i16 \dst, \src0, \src1 
.endm

.macro _v_cmpx_gt_i32 dst, src0, src1=
   v_cmpx_gt_i32 \dst, \src0, \src1 
.endm

.macro _v_cmpx_gt_i64 dst, src0, src1=
   v_cmpx_gt_i64 \dst, \src0, \src1 
.endm

.macro _v_cmpx_gt_u16 dst, src0, src1=
   v_cmpx_gt_u16 \dst, \src0, \src1 
.endm

.macro _v_cmpx_gt_u32 dst, src0, src1=
   v_cmpx_gt_u32 \dst, \src0, \src1 
.endm

.macro _v_cmpx_gt_u64 dst, src0, src1=
   v_cmpx_gt_u64 \dst, \src0, \src1 
.endm

.macro _v_cmpx_ne_i16 dst, src0, src1=
   v_cmpx_ne_i16 \dst, \src0, \src1 
.endm

.macro _v_cmpx_ne_i32 dst, src0, src1=
   v_cmpx_ne_i32 \dst, \src0, \src1 
.endm

.macro _v_cmpx_ne_i64 dst, src0, src1=
   v_cmpx_ne_i64 \dst, \src0, \src1 
.endm

.macro _v_cmpx_ne_u16 dst, src0, src1=
   v_cmpx_ne_u16 \dst, \src0, \src1 
.endm

.macro _v_cmpx_ne_u32 dst, src0, src1=
   v_cmpx_ne_u32 \dst, \src0, \src1 
.endm

.macro _v_cmpx_ne_u64 dst, src0, src1=
   v_cmpx_ne_u64 \dst, \src0, \src1 
.endm

.macro _v_cmpx_lg_i16 dst, src0, src1=
   v_cmpx_lg_i16 \dst, \src0, \src1 
.endm

.macro _v_cmpx_lg_i32 dst, src0, src1=
   v_cmpx_lg_i32 \dst, \src0, \src1 
.endm

.macro _v_cmpx_lg_i64 dst, src0, src1=
   v_cmpx_lg_i64 \dst, \src0, \src1 
.endm

.macro _v_cmpx_lg_u16 dst, src0, src1=
   v_cmpx_lg_u16 \dst, \src0, \src1 
.endm

.macro _v_cmpx_lg_u32 dst, src0, src1=
   v_cmpx_lg_u32 \dst, \src0, \src1 
.endm

.macro _v_cmpx_lg_u64 dst, src0, src1=
   v_cmpx_lg_u64 \dst, \src0, \src1 
.endm

.macro _v_cmpx_ge_i16 dst, src0, src1=
   v_cmpx_ge_i16 \dst, \src0, \src1 
.endm

.macro _v_cmpx_ge_i32 dst, src0, src1=
   v_cmpx_ge_i32 \dst, \src0, \src1 
.endm

.macro _v_cmpx_ge_i64 dst, src0, src1=
   v_cmpx_ge_i64 \dst, \src0, \src1 
.endm

.macro _v_cmpx_ge_u16 dst, src0, src1=
   v_cmpx_ge_u16 \dst, \src0, \src1 
.endm

.macro _v_cmpx_ge_u32 dst, src0, src1=
   v_cmpx_ge_u32 \dst, \src0, \src1 
.endm

.macro _v_cmpx_ge_u64 dst, src0, src1=
   v_cmpx_ge_u64 \dst, \src0, \src1 
.endm

.macro _v_cmpx_o_i16 dst, src0, src1=
   v_cmpx_o_i16 \dst, \src0, \src1 
.endm

.macro _v_cmpx_o_i32 dst, src0, src1=
   v_cmpx_o_i32 \dst, \src0, \src1 
.endm

.macro _v_cmpx_o_i64 dst, src0, src1=
   v_cmpx_o_i64 \dst, \src0, \src1 
.endm

.macro _v_cmpx_o_u16 dst, src0, src1=
   v_cmpx_o_u16 \dst, \src0, \src1 
.endm

.macro _v_cmpx_o_u32 dst, src0, src1=
   v_cmpx_o_u32 \dst, \src0, \src1 
.endm

.macro _v_cmpx_o_u64 dst, src0, src1=
   v_cmpx_o_u64 \dst, \src0, \src1 
.endm

.macro _v_cmpx_u_i16 dst, src0, src1=
   v_cmpx_u_i16 \dst, \src0, \src1 
.endm

.macro _v_cmpx_u_i32 dst, src0, src1=
   v_cmpx_u_i32 \dst, \src0, \src1 
.endm

.macro _v_cmpx_u_i64 dst, src0, src1=
   v_cmpx_u_i64 \dst, \src0, \src1 
.endm

.macro _v_cmpx_u_u16 dst, src0, src1=
   v_cmpx_u_u16 \dst, \src0, \src1 
.endm

.macro _v_cmpx_u_u32 dst, src0, src1=
   v_cmpx_u_u32 \dst, \src0, \src1 
.endm

.macro _v_cmpx_u_u64 dst, src0, src1=
   v_cmpx_u_u64 \dst, \src0, \src1 
.endm
.macro _v_mac_f32 c:req, a:req, b:req
    v_fmac_f32 \c, \a, \b
.endmacro

/* scale global load macros */
.macro _s_load_b32 dst base offset
    s_load_dword \dst \base \offset
.endm

.macro _s_load_b64 dst base offset
    s_load_dwordx2 \dst \base \offset
.endm

.macro _s_load_b128 dst base offset
    s_load_dwordx4 \dst \base \offset
.endm

.macro _s_load_b256 dst base offset
    s_load_dwordx8 \dst \base \offset
.endm

.macro _s_load_b512 dst base offset
    s_load_dwordx16 \dst \base \offset
.endm


/* ds operation macros */
.macro _ds_load_u8 dst src offset
    ds_read_u8 \dst \src \offset
.endm

.macro _ds_load_u8_d16_hi dst src offset
    ds_read_u8_d16_hi \dst \src \offset
.endm

.macro _ds_load_u16 dst src offset
    ds_read_u16 \dst \src \offset
.endm

.macro _ds_load_u16_d16_hi dst src offset
    ds_read_u16_d16_hi \dst \src \offset
.endm

.macro _ds_load_b32 dst src offset
    ds_read_b32 \dst \src \offset
.endm

.macro _ds_load_b64 dst src offset
    ds_read_b64 \dst \src \offset
.endm

.macro _ds_load_b128 dst src offset
    ds_read_b128 \dst \src \offset
.endm

.macro _ds_store_b8 dst src offset
    ds_write_b8 \dst \src \offset
.endm

.macro _ds_store_b8_d16_hi dst src offset
    ds_write_b8_d16_hi \dst \src \offset
.endm

.macro _ds_store_b16 dst src offset
    ds_write_b16 \dst \src \offset
.endm

.macro _ds_store_b16_d16_hi dst src offset
    ds_write_b16_d16_hi \dst \src \offset
.endm

.macro _ds_store_b32 dst src offset
    ds_write_b32 \dst \src \offset
.endm

.macro _ds_store_b64 dst src offset
    ds_write_b64 \dst \src \offset
.endm

.macro _ds_store_b128 dst src offset
    ds_write_b128 \dst \src \offset
.endm

.macro _ds_load2_b32 dst src offset1 offset2
    ds_read2_b32 \dst \src \offset1 \offset2
.endm

.macro _ds_load2_b64 dst src offset1 offset2
    ds_read2_b64 \dst \src \offset1 \offset2
.endm

.macro _ds_store2_b32 dst src offset1 offset2
    ds_write2_b32 \dst \src \offset1 \offset2
.endm

.macro _ds_store2_b64 dst src offset1 offset2
    ds_write2_b64 \dst \src \offset1 \offset2
.endm


/* buffer memory operation macros */
.macro _buffer_load_b32 dst voffset base soffset offen ioffset md0 md1 md2
    buffer_load_dword \dst \voffset \base \soffset \offen \ioffset \md0 \md1 \md2
.endm

.macro _buffer_load_b64 dst voffset base soffset offen ioffset md0 md1 md2
    buffer_load_dwordx2 \dst \voffset \base \soffset \offen \ioffset \md0 \md1 \md2
.endm

.macro _buffer_load_b96 dst voffset base soffset offen ioffset md0 md1 md2
    buffer_load_dwordx3 \dst \voffset \base \soffset \offen \ioffset \md0 \md1 \md2
.endm

.macro _buffer_load_b128 dst voffset base soffset offen ioffset md0 md1 md2
    buffer_load_dwordx4 \dst \voffset \base \soffset \offen \ioffset \md0 \md1 \md2
.endm

.macro _buffer_load_d16_b16 dst voffset base soffset offen ioffset md0 md1 md2
    buffer_load_short_d16 \dst \voffset \base \soffset \offen \ioffset \md0 \md1 \md2
.endm

.macro _buffer_load_d16_hi_b16 dst voffset base soffset offen ioffset md0 md1 md2
    buffer_load_short_d16_hi \dst \voffset \base \soffset \offen \ioffset \md0 \md1 \md2
.endm

.macro _buffer_load_d16_u8 dst voffset base soffset offen ioffset md0 md1 md2
    buffer_load_ubyte_d16 \dst \voffset \base \soffset \offen \ioffset \md0 \md1 \md2
.endm

.macro _buffer_load_d16_hi_u8 dst voffset base soffset offen ioffset md0 md1 md2
    buffer_load_ubyte_d16_hi \dst \voffset \base \soffset \offen \ioffset \md0 \md1 \md2
.endm

.macro _buffer_load_u16 dst voffset base soffset offen ioffset md0 md1 md2
    buffer_load_ushort \dst \voffset \base \soffset \offen \ioffset \md0 \md1 \md2
.endm

.macro _buffer_load_b32_dtl voffset base soffset offen ioffset md0 md1 md2
    buffer_load_dword \voffset \base \soffset \offen \ioffset \md0 \md1 \md2
.endm

.macro _buffer_load_b64_dtl voffset base soffset offen ioffset md0 md1 md2
    buffer_load_dwordx2 \voffset \base \soffset \offen \ioffset \md0 \md1 \md2
.endm

.macro _buffer_load_b128_dtl voffset base soffset offen ioffset md0 md1 md2
    buffer_load_dwordx4 \voffset \base \soffset \offen \ioffset \md0 \md1 \md2
.endm

.macro _buffer_load_u16_dtl voffset base soffset offen ioffset md0 md1 md2
    buffer_load_ushort \voffset \base \soffset \offen \ioffset \md0 \md1 \md2
.endm

.macro _buffer_store_b32 src voffset base soffset offen ioffset md0 md1 md2
    buffer_store_dword \src \voffset \base \soffset \offen \ioffset \md0 \md1 \md2
.endm

.macro _buffer_store_b64 src voffset base soffset offen ioffset md0 md1 md2
    buffer_store_dwordx2 \src \voffset \base \soffset \offen \ioffset \md0 \md1 \md2
.endm

.macro _buffer_store_b96 src voffset base soffset offen ioffset md0 md1 md2
    buffer_store_dwordx3 \src \voffset \base \soffset \offen \ioffset \md0 \md1 \md2
.endm

.macro _buffer_store_b128 src voffset base soffset offen ioffset md0 md1 md2
    buffer_store_dwordx4 \src \voffset \base \soffset \offen \ioffset \md0 \md1 \md2
.endm

.macro _buffer_store_b16 src voffset base soffset offen ioffset md0 md1 md2
    buffer_store_short \src \voffset \base \soffset \offen \ioffset \md0 \md1 \md2
.endm

.macro _buffer_store_d16_hi_b16 src voffset base soffset offen ioffset md0 md1 md2
    buffer_store_short_d16_hi \src \voffset \base \soffset \offen \ioffset \md0 \md1 \md2
.endm

.macro _buffer_store_b8 src voffset base soffset offen ioffset md0 md1 md2
    buffer_store_byte \src \voffset \base \soffset \offen \ioffset \md0 \md1 \md2
.endm

.macro _buffer_store_d16_hi_b8 src voffset base soffset offen ioffset md0 md1 md2
    buffer_store_byte_d16_hi \src \voffset \base \soffset \offen \ioffset \md0 \md1 \md2
.endm

.macro _buffer_atomic_cmpswap_b32 dst voffset base soffset offen ioffset md0 md1 md2
    buffer_atomic_cmpswap \dst \voffset \base \soffset \offen \ioffset \md0 \md1 \md2
.endm

.macro _buffer_atomic_cmpswap_b64 dst voffset base soffset offen ioffset md0 md1 md2
    buffer_atomic_cmpswap_x2 \dst \voffset \base \soffset \offen \ioffset \md0 \md1 \md2
.endm


/* buffer memory operation macros */
.macro _global_load_b32 dst base src ioffset md0 md1 md2
    global_load_dword \dst \base \src \ioffset \md0 \md1 \md2
.endm

.macro _global_load_b64 dst base src ioffset md0 md1 md2
    global_load_dwordx2 \dst \base \src \ioffset \md0 \md1 \md2
.endm

.macro _global_load_b96 dst base src ioffset md0 md1 md2
    global_load_dwordx3 \dst \base \src \ioffset \md0 \md1 \md2
.endm

.macro _global_load_b128 dst base src ioffset md0 md1 md2
    global_load_dwordx4 \dst \base \src \ioffset \md0 \md1 \md2
.endm

.macro _global_load_d16_b16 dst base src ioffset md0 md1 md2
    global_load_short_d16 \dst \base \src \ioffset \md0 \md1 \md2
.endm

.macro _global_load_d16_hi_b16 dst base src ioffset md0 md1 md2
    global_load_short_d16_hi \dst \base \src \ioffset \md0 \md1 \md2
.endm

.macro _global_load_d16_u8 dst base src ioffset md0 md1 md2
    global_load_ubyte_d16 \dst \base \src \ioffset \md0 \md1 \md2
.endm

.macro _global_load_d16_hi_u8 dst base src ioffset md0 md1 md2
    global_load_ubyte_d16_hi \dst \base \src \ioffset \md0 \md1 \md2
.endm

.macro _global_load_u16 dst base src ioffset md0 md1 md2
    global_load_ushort \dst \base \src \ioffset \md0 \md1 \md2
.endm

.macro _global_store_b32 base src src2 md0 md1 md2
    global_store_dword \base \src \src2 \md0 \md1 \md2
.endm

.macro _global_store_b64 base src src2 md0 md1 md2
    global_store_dwordx2 \base \src \src2 \md0 \md1 \md2
.endm

.macro _global_store_b96 base src src2 md0 md1 md2
    global_store_dwordx3 \base \src \src2 \md0 \md1 \md2
.endm

.macro _global_store_b128 base src src2 md0 md1 md2
    global_store_dwordx4 \base \src \src2 \md0 \md1 \md2
.endm

.macro _global_store_d16_b16 base src src2 md0 md1 md2
    global_store_short \base \src \src2 \md0 \md1 \md2
.endm

.macro _global_store_d16_hi_b16 base src src2 md0 md1 md2
    global_store_short_d16_hi \base \src \src2 \md0 \md1 \md2
.endm

.macro _global_store_d16_u8 base src src2 md0 md1 md2
    global_store_ubyte_d16 \base \src \src2 \md0 \md1 \md2
.endm

.macro _global_store_d16_hi_u8 base src src2 md0 md1 md2
    global_store_ubyte_d16_hi \base \src \src2 \md0 \md1 \md2
.endm

.macro _global_store_u16 base src src2 md0 md1 md2
    global_store_ushort \base \src \src2 \md0 \md1 \md2
.endm

.macro _global_atomic_cmpswap_b32 tmp base data src ioffset md
    global_atomic_cmpswap \tmp \base \data \src \ioffset \md
.endm

.macro _global_atomic_cmpswap_b64 tmp base data src ioffset md
    global_atomic_cmpswap_x2 \tmp \base \data \src \ioffset \md
.endm


/******************************************/
/* Magic div and mod functions            */
/******************************************/
.macro V_MAGIC_DIV dstIdx:req, dividend:req, magicNumber:req, magicShift:req, magicA:req
    v_mul_hi_u32 v[\dstIdx+1], \dividend, \magicNumber
    v_mul_lo_u32 v[\dstIdx+0], \dividend, \magicA
    _v_add_u32 v[\dstIdx+0], v[\dstIdx+0], v[\dstIdx+1]
    v_lshrrev_b32 v[\dstIdx+0], \magicShift, v[\dstIdx+0]
.endm

/******************************************/
/* VGPR Assignments                       */
/******************************************/
/* ValuC range: [0-96), serializedStore enabled */
.set vgprValuC, 0
/* ValuA/B   Xn=PLR buffer idx,  In=InnerUnroll idx */
.set vgprValuA_X0_I0, 96
.set vgprValuA_X1_I0, 102
.set vgprValuA_X2_I0, 108
.set vgprValuA_X3_I0, 114
.set vgprValuA_X0_I0_D1, 120
.set vgprValuA_X1_I0_D1, 126
.set vgprValuA_X2_I0_D1, 132
.set vgprValuA_X3_I0_D1, 138
.set vgprG2LA, 172
.set vgprValuB_X0_I0, 144
.set vgprValuB_X1_I0, 144
.set vgprValuB_X2_I0, 144
.set vgprValuB_X3_I0, 144
.set vgprValuB_X0_I0_D0, 148
.set vgprValuB_X0_I0_D1, 149
.set vgprValuB_X0_I0_D2, 150
.set vgprValuB_X0_I0_D3, 151
.set vgprValuB_X1_I0_D0, 152
.set vgprValuB_X1_I0_D1, 153
.set vgprValuB_X1_I0_D2, 154
.set vgprValuB_X1_I0_D3, 155
.set vgprValuB_X2_I0_D0, 156
.set vgprValuB_X2_I0_D1, 157
.set vgprValuB_X2_I0_D2, 158
.set vgprValuB_X2_I0_D3, 159
.set vgprValuB_X3_I0_D0, 160
.set vgprValuB_X3_I0_D1, 161
.set vgprValuB_X3_I0_D2, 162
.set vgprValuB_X3_I0_D3, 163
.set vgprG2LB, 184
.set vgprLocalWriteAddrA, 164
.set vgprLocalWriteAddrB, 165
.set vgprGlobalReadOffsetA, 166
.set vgprGlobalReadOffsetB, 169
.set vgprLocalReadAddrA, 192
.set vgprLocalReadAddrB, 193
.set vgprSerial, 194
/* Num VGPR=256 */
/* Num AccVGPR=0 */

/******************************************/
/* SGPR Assignments                       */
/******************************************/
.set sgprKernArgAddress, 0 // (2)
.set sgprWorkGroup0, 2 // (1)
.set sgprWorkGroup1, 3 // (1)
.set sgprWorkGroup2, 4 // (1)
.set sgprGSUSumIdx, 5 // (2)
.set sgprLoopCounterL, 7 // (1)
.set sgprOrigLoopCounter, 8 // (1)
.set sgprSrdA, 12 // (4)
.set sgprSrdB, 16 // (4)
.set sgprSrdD, 20 // (4)
.set sgprSrdC, 24 // (4)
.set sgprTensor2dSizeA, 28 // (2)
.set sgprTensor2dSizeB, 30 // (2)
.set sgprAddressD, 32 // (2)
.set sgprAddressC, 34 // (2)
.set sgprAddressA, 36 // (2)
.set sgprAddressB, 38 // (2)
.set sgprAlpha, 40 // (1)
.set sgprBeta, 41 // (1)
.set sgprStridesD, 42 // (2)
.set sgprStridesC, 44 // (2)
.set sgprStridesA, 46 // (2)
.set sgprStridesB, 48 // (2)
.set sgprSizesFree, 50 // (3)
.set sgprSizesSum, 53 // (1)
.set sgprOrigStaggerUIter, 54 // (1)
.set sgprNumWorkGroups0, 55 // (1)
.set sgprNumWorkGroups1, 56 // (1)
.set sgprNumFullBlocks, 57 // (1)
.set sgprWgmRemainder1, 58 // (1)
.set sgprMagicNumberWgmRemainder1, 59 // (1)
.set sgprShadowLimitA, 0 // (2)
.set sgprShadowLimitB, 32 // (2)
.set sgprStaggerUIter, 9 // (1)
.set sgprWrapUA, 34 // (2)
.set sgprWrapUB, 36 // (2)
.set sgprGlobalReadIncsA, 38 // (1)
.set sgprGlobalReadIncsB, 39 // (1)
.set sgprPackKForV0, 60 // (1)
.set sgprPackKForV1, 61 // (1)
/* max SGPR=68 */

/* Size Assignments */
.set sgprSizeI, sgprSizesFree+0
.set sgprSizeJ, sgprSizesFree+1
.set sgprSizeK, sgprSizesFree+2
.set sgprSizeL, sgprSizesSum+0

/* Stride Assignments */
.set constStrideD0I, 1
.set sgprStrideD1J, sgprStridesD+0
.set sgprStrideDK, sgprStridesD+1
.set constStrideC0I, 1
.set sgprStrideC1J, sgprStridesC+0
.set sgprStrideCK, sgprStridesC+1
.set constStrideA0I, 1
.set sgprStrideAL, sgprStridesA+0
.set sgprStrideAK, sgprStridesA+1
.set constStrideB1J, 1
.set sgprStrideBL, sgprStridesB+0
.set sgprStrideBK, sgprStridesB+1

.set MT0, 192
.set MT1, 128
.set DepthU, 32
.set GSU, 38
.set BpeA, 2
.set BpeALog2, 1
.set BpeB, 2
.set BpeBLog2, 1
/* Number of elements to shift-left SRD */
.set SrdShiftLeftA, 8
.set SrdShiftLeftB, 8
/* 2GB limit - set offsets to -1 to exceed this and clamp */
.set BufferLimitA, 0xffffffff
.set BufferLimitB, 0xffffffff
.set BufferOOB, 0xfffff000

/******************************************/
/* Bits 127:96 of SRD.                    */
/* hex: 0x00020000                        */
/* dst_sel_x (3b): 0                      */
/* dst_sel_y (3b): 0                      */
/* dst_sel_z (3b): 0                      */
/* dst_sel_w (3b): 0                      */
/* num_format (3b): 0                     */
/* data_format (4b): 4                    */
/* user_vm_enable (1b): 0                 */
/* user_vm_mode (1b): 0                   */
/* index_stride (2b): 0                   */
/* add_tid_enable (1b): 0                 */
/* _unusedA (3b): 0                       */
/* nv (1b): 0                             */
/* _unusedB (2b): 0                       */
/* type (2b): 0                           */
/******************************************/
.set Srd127_96, 0x00020000

/* Global Offset A */
.macro GLOBAL_OFFSET_A vgprAddr:req vgprOffset0I:req vgprOffsetL:req vgprTmp:req
v_mul_lo_u32 v[\vgprTmp+0], s[sgprStrideAL], v[\vgprOffsetL] // mul d1 lower
_v_add_co_u32 v[\vgprAddr+0], vcc, v[\vgprOffset0I], v[\vgprTmp+0] // accumulate K lower
_v_add_u32 v[\vgprAddr+0], 0x8, v[\vgprAddr+0]     // add prepad for pointer shift
v_lshlrev_b32 v[\vgprAddr+0], 0x1, v[\vgprAddr+0]  // offset *= bytes/element
.endm

/* Global Offset B */
.macro GLOBAL_OFFSET_B vgprAddr:req vgprOffset1J:req vgprOffsetL:req vgprTmp:req
v_mul_lo_u32 v[\vgprTmp+0], s[sgprStrideBL], v[\vgprOffsetL] // mul d1 lower
_v_add_co_u32 v[\vgprAddr+0], vcc, v[\vgprOffset1J], v[\vgprTmp+0] // accumulate K lower
_v_add_u32 v[\vgprAddr+0], 0x8, v[\vgprAddr+0]     // add prepad for pointer shift
v_lshlrev_b32 v[\vgprAddr+0], 0x1, v[\vgprAddr+0]  // offset *= bytes/element
.endm

/******************************************/
/* Dynamic Scalar Divide: vQuotient=vDividend/vDivisor; vRemainder=vDividend%vDivisor; */
/******************************************/
.macro DYNAMIC_VECTOR_DIVIDE vQuotient vRemainder vDividend vDivisor vTmp0 vTmp1 sTmp
v_cvt_f32_u32 v[\vQuotient], v[\vDivisor]          // 
v_rcp_f32 v[\vQuotient], v[\vQuotient]             // 
v_mul_f32 v[\vQuotient], 0x4f800000, v[\vQuotient] // 
v_cvt_u32_f32 v[\vQuotient], v[\vQuotient]         // 
v_mul_lo_u32 v[\vRemainder], v[\vDivisor], v[\vQuotient] // 
v_mul_hi_u32 v[\vTmp0], v[\vDivisor], v[\vQuotient] // 
_v_sub_co_u32 v[\vTmp1], vcc, 0x0, v[\vRemainder]  // 
v_cmp_ne_i32 s[\sTmp:\sTmp+1], 0x0, v[\vTmp0]      // 
v_cndmask_b32 v[\vRemainder], v[\vTmp1], v[\vRemainder], s[\sTmp:\sTmp+1] // 
v_mul_hi_u32 v[\vRemainder], v[\vRemainder], v[\vQuotient] // 
_v_sub_co_u32 v[\vTmp0], vcc, v[\vQuotient], v[\vRemainder] // 
_v_add_co_u32 v[\vQuotient], vcc, v[\vQuotient], v[\vRemainder] // 
v_cndmask_b32 v[\vQuotient], v[\vQuotient], v[\vTmp0], s[\sTmp:\sTmp+1] // 
v_mul_hi_u32 v[\vQuotient], v[\vQuotient], v[\vDividend] // 
v_mul_lo_u32 v[\vRemainder], v[\vQuotient], v[\vDivisor] // 
_v_sub_co_u32 v[\vTmp0], vcc, v[\vDividend], v[\vRemainder] // 
v_cmp_ge_u32 s[\sTmp:\sTmp+1], v[\vDividend], v[\vRemainder] // 
_v_add_co_u32 v[\vRemainder], vcc, 0x1, v[\vQuotient] // 
_v_add_co_u32 v[\vTmp1], vcc, -1, v[\vQuotient]    // 
v_cmp_le_u32 vcc, v[\vDivisor], v[\vTmp0]          // 
s_and_b64 vcc, s[\sTmp:\sTmp+1], vcc               // 
v_cndmask_b32 v[\vQuotient], v[\vQuotient], v[\vRemainder], vcc // 
v_cndmask_b32 v[\vQuotient], v[\vTmp1], v[\vQuotient], s[\sTmp:\sTmp+1] // 
v_cmp_ne_i32 vcc, 0x0, v[\vDivisor]                // 
v_cndmask_b32 v[\vQuotient], -1, v[\vQuotient], vcc // final result
v_mul_lo_u32 v[\vRemainder], v[\vQuotient], v[\vDivisor] // 
_v_sub_co_u32 v[\vRemainder], vcc, v[\vDividend], v[\vRemainder] // final result
.endm


	;; [unrolled: 1-line block ×3, first 2 shown]
/******************************************/
/* Allocate Resources                     */
/******************************************/

Cijk_Ailk_Bjlk_HHS_BH_MT192x128x32_MI32x32x8x1_SN_1LDSB0_APM1_AF0EM1_AF1EM1_AMAS0_ASE_ASGT_ASLT_ASM_ASAE01_ASCE01_ASEM1_BL1_BS1_CLR1_DTVA0_DTVB0_ETSP_EPS1_ELFLR0_EMLL0_FSSC10_FL0_GLVWA8_GLVWB8_GRCGA1_GRPM1_GRVW8_GSU38_GSUAMB_GLS0_IU1_K1_LBSPPA0_LBSPPB0_LPA0_LPB0_LRVW4_LWPMn1_MIAV1_MKFGSU256_NTA0_NTB0_NTC0_NTD0_NEPBS0_NLCA3_NLCB1_ONLL1_PGR2_PLR5_PKA0_SIA3_SLW1_SS0_SU32_SUM0_SUS256_SPO0_SRVW0_SSO0_SVW4_TSGRA0_TSGRB0_TT3_64_TLDS0_UMLDSA0_UMLDSB0_USFGROn1_VAW1_VSn1_VW1_VWB2_VFLRP1_WSGRA0_WSGRB0_WG64_4_1_WGM30_preloaded: // Kernel start when preloading

/* Load Kernel Args */
_s_load_b512 s[28:43], s[sgprKernArgAddress:sgprKernArgAddress+1], 0x0 // 
_s_load_b512 s[44:59], s[sgprKernArgAddress:sgprKernArgAddress+1], 0x40 // 
s_mov_b32 m0, 0xd000                               // LDS clamp at 53248 bytes
v_mov_b32 v[vgprSerial], v0                        // thread serial id

/******************************************/
/* Local Read Addresses                   */
/******************************************/


/* local read addresses: tile assignments a/b */

/*lr0I*/
v_and_b32 v1, 63, v[vgprSerial]                    // 0. thread id in wave: wtid = tid % wavelength(64)
v_and_b32 v0, 31, v1                               // 1. N offset: nIdx = wtid % MI_N(32)
                                                   // 1. N offset: nOffset = nIdx * nStride(1) (multiplier is 1, do nothing)
                                                   // 2. block offset: bnIdx = bnIdx % num1DBlocks(1) is 0. do nothing
                                                   // 4. apply VectorWidth: bnOffset = bnOffset * vw(1) (multiplier is 1, do nothing)
v_lshrrev_b32 v1, 5, v1                            // 5. K offset: kIdx = wtid / (MIN(32) * MIBB(1))
s_mov_b32 s9, 0x300                                // 5. K offset: lrKOffset = kIdx * mStride(768)
v_mul_lo_u32 v1, s9, v1                            // 5. K offset: lrKOffset = kIdx * mStride(768)
_v_add_u32 v0, v1, v0                              // 6. offset in wave: lrOffset = bnOffset + lrKOffset
v_lshrrev_b32 v2, 6, v[vgprSerial]                 // 7. wave offset in N dimen: wtid = tid / dividedForWaveId(64)
v_and_b32 v1, 1, v2                                // 7. wave offset in M dimen: wtid0 = wtid / num1DWaves(2)
v_lshlrev_b32 v1, 0x5, v1                          // 7. wave offset in M dimen: wOffset = wtid0 * W0Stride(32)
_v_add_u32 v0, v1, v0                              // 8. final local read offset: flrOffset = lrOffset + WOffset
/*lr1J*/
v_and_b32 v2, 63, v[vgprSerial]                    // 0. thread id in wave: wtid = tid % wavelength(64)
v_and_b32 v1, 31, v2                               // 1. N offset: nIdx = wtid % MI_N(32)
                                                   // 1. N offset: nOffset = nIdx * nStride(1) (multiplier is 1, do nothing)
                                                   // 2. block offset: bnIdx = bnIdx % num1DBlocks(1) is 0. do nothing
v_lshlrev_b32 v1, 0x1, v1                          // 4. apply VectorWidth: bnOffset = bnOffset * vw(2)
v_lshrrev_b32 v2, 5, v2                            // 5. K offset: kIdx = wtid / (MIN(32) * MIBB(1))
v_lshlrev_b32 v2, 0x9, v2                          // 5. K offset: lrKOffset = kIdx * mStride(512)
_v_add_u32 v1, v2, v1                              // 6. offset in wave: lrOffset = bnOffset + lrKOffset
v_lshrrev_b32 v3, 7, v[vgprSerial]                 // 7. wave offset in N dimen: wtid = tid / dividedForWaveId(128)
v_and_b32 v2, 1, v3                                // 7. wave offset in M dimen: wtid0 = wtid / num1DWaves(2)
v_lshlrev_b32 v2, 0x6, v2                          // 7. wave offset in M dimen: wOffset = wtid0 * W0Stride(64)
_v_add_u32 v1, v2, v1                              // 8. final local read offset: flrOffset = lrOffset + WOffset


/* local read addresses: final offsets a */

v_lshlrev_b32 v[vgprLocalReadAddrA], 0x1, v0       // Final Offset: offset = (lro0)*bpe


/* local read addresses: final offsets b */

v_lshlrev_b32 v[vgprLocalReadAddrB], 0x1, v1       // Final Offset: offset = (lro1)*bpe


/* local read addresses: declare addresses a */

/* N/A */


/* local read addresses: declare addresses b */

_v_add_co_u32 v[vgprLocalReadAddrB+0], vcc, 0x3000, v[vgprLocalReadAddrB+0] //  += LdsOffsetB (lower)


/* global read addresses: tile offset assignment a */

/* LVCA = 8 */
/* v0 = (local)groA-tile = serial%LVCA (note (wgA*MTA) will be added to SRD) */
/* v1 = groA-unroll = serial/LVCA */
v_lshrrev_b32 v1, 3, v[vgprSerial]                 // v1 = v[vgprSerial] / 8
v_and_b32 v0, 7, v[vgprSerial]                     // v0 = v[vgprSerial] % 8
/* gro-tile *= glvw */
v_lshlrev_b32 v0, 0x3, v0                          // v0 = v0 * 8
v_mov_b32 v2, v1                                   // copy for GlobalSplitU


/* global read addresses: tile offset assignment b */

/* LVCB = 16 */
/* v3 = (local)groB-tile = serial%LVCB (note (wgB*MTB) will be added to SRD) */
/* v4 = groB-unroll = serial/LVCB */
v_lshrrev_b32 v4, 4, v[vgprSerial]                 // v4 = v[vgprSerial] / 16
v_and_b32 v3, 15, v[vgprSerial]                    // v3 = v[vgprSerial] % 16
/* gro-tile *= glvw */
v_lshlrev_b32 v3, 0x3, v3                          // v3 = v3 * 8
v_mov_b32 v5, v4                                   // copy for GlobalSplitU


/******************************************/
/* Local Write Addresses                  */
/******************************************/

/* lwaTileAssignmentA = v0 */

/* lwaTileAssignmentB = v3 */

/* lwaUnrollAssignmentA = v2 */

/* lwaUnrollAssignmentB = v5 */


/* local write addresses: first offset a */

v_mul_u32_u24 v[vgprLocalWriteAddrA], 0xc0, v2     // lwAL**(MTA + PAD)
_v_add_lshl_u32 v[vgprLocalWriteAddrA], v0, v[vgprLocalWriteAddrA], 0x1 // lwFOA = (lwAA + lwAL*(MT0I+PAD))*bpe


/* local write addresses: first offset b */

v_mul_u32_u24 v[vgprLocalWriteAddrB], 0x80, v5     // lwBL**(MTB + PAD)
_v_add_lshl_u32 v[vgprLocalWriteAddrB], v3, v[vgprLocalWriteAddrB], 0x1 // lwFOB = (lwBB + lwBL*(MT1J+PAD))*bpe
_v_add_co_u32 v[vgprLocalWriteAddrB], vcc, 0x3000, v[vgprLocalWriteAddrB] // lwFOB = lwB1J + lwBL*MT1J + LDS_OFFSET_B=6144*2


	;; [unrolled: 1-line block ×7, first 2 shown]
s_waitcnt lgkmcnt(0)                               // wait for 128 bytes of kern args
s_mov_b64 s[sgprSrdC+0:sgprSrdC+0+1], s[sgprAddressC+0:sgprAddressC+0+1] // copy addressC
s_mov_b64 s[sgprSrdD+0:sgprSrdD+0+1], s[sgprAddressD+0:sgprAddressD+0+1] // copy addressD
s_sub_u32 s[sgprSrdA+0], s[sgprAddressA+0], 16     // pre-pad to make room for possible pointer shift
s_subb_u32 s[sgprSrdA+1], s[sgprAddressA+1], 0     // pre-pad to make room for possible pointer shift
s_sub_u32 s[sgprSrdB+0], s[sgprAddressB+0], 16     // pre-pad to make room for possible pointer shift
s_subb_u32 s[sgprSrdB+1], s[sgprAddressB+1], 0     // pre-pad to make room for possible pointer shift

.set AddressD, UNDEF
.set AddressC, UNDEF
.set AddressA, UNDEF
.set AddressB, UNDEF

/* Short circuit condition if Alpha == 0, then sumDims=0 */
v_cmp_eq_f32 vcc, s[sgprAlpha], 0.0                // Alpha == 0.0f ?
s_cbranch_vccz label_AlphaNonZero                  // branch if alpha != 0
s_mov_b32 s[sgprSizesSum+0], 0x0                   // Set summation dim=0 if Alpha == 0
label_AlphaNonZero:
s_mov_b32 s[sgprPackKForV0], 0x05040100            // half pack value 0 for v_perm_b32
s_mov_b32 s[sgprPackKForV1], 0x07060302            // half pack value 1 for v_perm_b32


	;; [unrolled: 1-line block ×3, first 2 shown]
/******************************************/
/* Begin setupNewTile, isPap=False           */
/******************************************/


/* global read addresses: work-group */

/* graWorkGroup mapping */
// GSU-not-WGMapRR :nwg1 = (size1J + MT1J - 1) / MT1J;
s_mov_b32 s64, s[sgprWorkGroup1]                   // copying for divisor
s_mov_b32 s63, 0x0                                 // STATIC_DIV: divisior=38
s_mul_i32 s62, 0xd79, s64                          // tmp1 = dividend * magic hi
s_lshl_b64 s[62:63], s[62:63], 0x10                // left shift 16 bits
s_mul_i32 s[sgprWorkGroup1], s64, 0x435f           // tmp0 = dividend * magic lo
s_add_u32 s62, s[sgprWorkGroup1], s62              // add lo
s_addc_u32 s63, s63, 0x0                           // add hi
s_lshr_b64 s[62:63], s[62:63], 0x21                // tmp1 = (dividend * magic) << shift
s_mov_b32 s[sgprWorkGroup1], s62                   // quotient
s_mul_i32 s62, s[sgprWorkGroup1], 0x26             // quotient*divisor
s_sub_u32 s[sgprGSUSumIdx], s64, s62               // rReg = dividend - quotient*divisor
s_mov_b32 s65, 0x4444445L                          // magic number for WGM==30
s_mul_hi_u32 s63, s[sgprWorkGroup1], s65           // s_magic mul
s_mul_i32 s62, s[sgprWorkGroup1], s65              // s_magic mul
s_lshr_b64 s[62:63], s[62:63], 31                  // sMagicDiv
s_mul_i32 s63, s62, 30                             // quotient * non-magic divisor
s_sub_u32 s63, s[sgprWorkGroup1], s63              // WorkGroup1=remainder
s_mul_i32 s63, s63, s[sgprNumWorkGroups0]          // (wg1 % WGM)*nwg0
s_add_u32 s63, s63, s[sgprWorkGroup0]              // wgSerial = wg0 + (wg1 % WGM)*nwg1
s_cmp_ge_u32 s62, s[sgprNumFullBlocks]             // blockId >= numFullBlocks ?
s_cmov_b32 s65, s[sgprMagicNumberWgmRemainder1]    // 
s_cselect_b32 s64, s[sgprWgmRemainder1], 30        // 
s_mul_hi_u32 s3, s63, s65                          // s_magic mul
s_mul_i32 s2, s63, s65                             // s_magic mul
s_lshr_b64 s[2:3], s[2:3], 31                      // sMagicDiv
s_mul_i32 s[sgprWorkGroup1], s[sgprWorkGroup0], s64 // quotient * non-magic divisor
s_sub_u32 s[sgprWorkGroup1], s63, s[sgprWorkGroup1] // WorkGroup1=remainder
s_mul_i32 s62, s62, 30                             // blockId * WGM
s_add_u32 s[sgprWorkGroup1], s[sgprWorkGroup1], s62 // wg1 += blockId * WGM


/* global read addresses: unroll assignment a */

/* v1 */


/* global read addresses: unroll assignment b */

/* v4 */


/* global read addresses: other free assignments */

/* s[sgprWorkGroup2] */


/* global read addresses: tile offsets a */

v_mov_b32 v6, v0                                   // groA0I_0
_v_add_co_u32 v7, vcc, 64, v6                      // groA0I_1 += LSCA
_v_add_co_u32 v8, vcc, 64, v7                      // groA0I_2 += LSCA


/* global read addresses: tile offsets b */

v_mov_b32 v9, v3                                   // groB1J_0


/* global read addresses: unroll offsets a */

v_mov_b32 v10, v1                                  // groAL_0


/* global read addresses: unroll offsets b */

v_mov_b32 v11, v4                                  // groBL_0
_v_add_co_u32 v12, vcc, 16, v11                    // groBL_1 + LSPB


/* global read addresses: shift a */

s_mul_i32 s62, s[sgprWorkGroup0], 192              // WorkGroup[01] * MT
s_sub_u32 s62, s[sgprSizeI], s62                   // edge = Size0I - WG*MT
s_sub_u32 s62, s62, 8                              // edge -= margin(8)
v_mov_b32 v13, s62                                 // edge vgpr = Size0I- WG*MT - margin(8)
v_min_i32 v6, v13, v6                              // offset = (offset < edge) ? offset(v6) : edge(v13)
v_min_i32 v7, v13, v7                              // offset = (offset < edge) ? offset(v7) : edge(v13)
	;; [unrolled: 1-line block ×3, first 2 shown]


/* global read addresses: shift b */

s_mul_i32 s62, s[sgprWorkGroup1], 128              // WorkGroup[01] * MT
s_sub_u32 s62, s[sgprSizeJ], s62                   // edge = Size1J - WG*MT
s_sub_u32 s62, s62, 8                              // edge -= margin(8)
v_mov_b32 v13, s62                                 // edge vgpr = Size1J- WG*MT - margin(8)
v_min_i32 v9, v13, v9                              // offset = (offset < edge) ? offset(v9) : edge(v13)


/* global read addresses: final offsets a */

GLOBAL_OFFSET_A vgprGlobalReadOffsetA+0,  6, 10, 13 // gROA_0_0_0_0
GLOBAL_OFFSET_A vgprGlobalReadOffsetA+1,  7, 10, 13 // gROA_1_0_0_0
GLOBAL_OFFSET_A vgprGlobalReadOffsetA+2,  8, 10, 13 // gROA_2_0_0_0


/* global read addresses: final offsets b */

GLOBAL_OFFSET_B vgprGlobalReadOffsetB+0,  9, 11, 6 // gROB_0_0_0_0
GLOBAL_OFFSET_B vgprGlobalReadOffsetB+1,  9, 12, 6 // gROB_0_0_1_0


/* global read addresses: addresses a */

/* max read offset = size[n] * stride[n-1] */
s_mul_hi_u32 s65, s[sgprWorkGroup0], 192           // WorkGroup[01] * MT
s_mul_i32 s64, s[sgprWorkGroup0], 192              // WorkGroup[01] * MT
s_mul_hi_u32 s63, 32, s[sgprGSUSumIdx]             // gsuOffset = DepthU*bpe*GSUSumIdx
s_mul_i32 s62, 32, s[sgprGSUSumIdx]                // gsuOffset = DepthU*bpe*GSUSumIdx
s_mul_hi_u32 s63, s62, s[sgprStrideAL]             // tlu=1, scaled unroll-offset by stride
s_mul_i32 s62, s62, s[sgprStrideAL]                // tlu=1, scaled unroll-offset by stride
s_add_u32 s64, s64, s62                            // accum GsuOffset term to tilestart
s_addc_u32 s65, s65, s63                           // accum GsuOffset term to tilestart
s_sub_u32 s[sgprShadowLimitA+0], s[sgprTensor2dSizeA], s64 // sub tileStart
s_subb_u32 s[sgprShadowLimitA+1], s[sgprTensor2dSizeA+1], s65 // sub tileStart
s_lshl_b64 s[sgprShadowLimitA:sgprShadowLimitA+1], s[sgprShadowLimitA:sgprShadowLimitA+1], 0x1 // Set limit to use bytes
s_add_u32 s[sgprShadowLimitA+0], s[sgprShadowLimitA+0], 16 // extend limit for pre-pad
s_addc_u32 s[sgprShadowLimitA+1], s[sgprShadowLimitA+1], 0 // extend limit for pre-pad
s_cmp_eq_u32 s[sgprShadowLimitA+1], 0              // are we within 2^32?
s_cselect_b32 s[sgprSrdA+2], s[sgprShadowLimitA+0], BufferLimitA // Move shadow to real if we are within 2^32
s_mul_hi_u32 s63, s[sgprStrideAK], s[sgprWorkGroup2] // Stride*WG
s_mul_i32 s62, s[sgprStrideAK], s[sgprWorkGroup2]  // Stride*WG
s_add_u32 s64, s64, s62                            // accum wg term to tilestart
s_addc_u32 s65, s65, s63                           // accum wg term to tilestart
s_lshl_b64 s[64:65], s[64:65], 0x1                 // tileStart *= BPE
s_add_u32 s[sgprSrdA+0], s[sgprSrdA+0], s64        // SRD base = Address+ tileStart0
s_addc_u32 s[sgprSrdA+1], s[sgprSrdA+1], s65       // SRD base = Address+ tileStart1
s_mov_b32 s[sgprSrdA+3], Srd127_96                 // Set bits 127_96 in SRD


/* global read addresses: addresses b */

/* max read offset = size[n] * stride[n-1] */
s_mul_hi_u32 s65, s[sgprWorkGroup1], 128           // WorkGroup[01] * MT
s_mul_i32 s64, s[sgprWorkGroup1], 128              // WorkGroup[01] * MT
s_mul_hi_u32 s63, 32, s[sgprGSUSumIdx]             // gsuOffset = DepthU*bpe*GSUSumIdx
s_mul_i32 s62, 32, s[sgprGSUSumIdx]                // gsuOffset = DepthU*bpe*GSUSumIdx
s_mul_hi_u32 s63, s62, s[sgprStrideBL]             // tlu=1, scaled unroll-offset by stride
s_mul_i32 s62, s62, s[sgprStrideBL]                // tlu=1, scaled unroll-offset by stride
s_add_u32 s64, s64, s62                            // accum GsuOffset term to tilestart
s_addc_u32 s65, s65, s63                           // accum GsuOffset term to tilestart
s_sub_u32 s[sgprShadowLimitB+0], s[sgprTensor2dSizeB], s64 // sub tileStart
s_subb_u32 s[sgprShadowLimitB+1], s[sgprTensor2dSizeB+1], s65 // sub tileStart
s_lshl_b64 s[sgprShadowLimitB:sgprShadowLimitB+1], s[sgprShadowLimitB:sgprShadowLimitB+1], 0x1 // Set limit to use bytes
s_add_u32 s[sgprShadowLimitB+0], s[sgprShadowLimitB+0], 16 // extend limit for pre-pad
s_addc_u32 s[sgprShadowLimitB+1], s[sgprShadowLimitB+1], 0 // extend limit for pre-pad
s_cmp_eq_u32 s[sgprShadowLimitB+1], 0              // are we within 2^32?
s_cselect_b32 s[sgprSrdB+2], s[sgprShadowLimitB+0], BufferLimitB // Move shadow to real if we are within 2^32
s_mul_hi_u32 s63, s[sgprStrideBK], s[sgprWorkGroup2] // Stride*WG
s_mul_i32 s62, s[sgprStrideBK], s[sgprWorkGroup2]  // Stride*WG
s_add_u32 s64, s64, s62                            // accum wg term to tilestart
s_addc_u32 s65, s65, s63                           // accum wg term to tilestart
s_lshl_b64 s[64:65], s[64:65], 0x1                 // tileStart *= BPE
s_add_u32 s[sgprSrdB+0], s[sgprSrdB+0], s64        // SRD base = Address+ tileStart0
s_addc_u32 s[sgprSrdB+1], s[sgprSrdB+1], s65       // SRD base = Address+ tileStart1
s_mov_b32 s[sgprSrdB+3], Srd127_96                 // Set bits 127_96 in SRD


/* global read addresses: increments a */

s_mul_i32 s[sgprGlobalReadIncsA+0], DepthU*BpeA*38, s[sgprStrideAL] // incrA unrollIdx)


/* global read addresses: increments b */

s_mul_i32 s[sgprGlobalReadIncsB+0], DepthU*BpeB*38, s[sgprStrideBL] // incrB unrollIdx)

/* declare loop num iterations */


s_lshr_b32 s[sgprLoopCounterL], s[sgprSizesSum+0], 5 // s[sgprLoopCounterL] = s[sgprSizesSum+0] / 32
v_mov_b32 v2, s[sgprLoopCounterL]                  // copy for divide IterGsu
s_mov_b32 s62, 0xd79435f                           // v0 = v2 / 38
v_mul_hi_u32 v0, v2, s62                           // v0 = v2 / 38
v_lshrrev_b32 v0, 0x1, v0                          // v0 = v2 / 38
s_mov_b32 s62, 0x26                                // v1 = v2 % 38
v_mul_lo_u32 v1, v0, s62                           // v1 = v2 % 38
_v_sub_u32 v1, v2, v1                              // v1 = v2 % 38
v_readfirstlane_b32 s[sgprLoopCounterL], v0        // 
v_readfirstlane_b32 s[sgprGSUSumIdx+1], v1         // 
s_add_u32 s62, 1, s[sgprLoopCounterL]              // tmp<-numIterMyWg+
s_cmp_lt_u32 s[sgprGSUSumIdx], s[sgprGSUSumIdx+1]  // gsuSumIdx < numIterPerWgRemainder
s_cmov_b32 s[sgprLoopCounterL], s62                // numIterMyWg++ if needed
s_mov_b32 s[sgprOrigLoopCounter], s[sgprLoopCounterL] // copy loop counter

s_and_b32 s[sgprStaggerUIter], s[sgprOrigStaggerUIter], s[sgprWorkGroup0] // Compute actual stagger start for this tile
s_lshl_b32 s[sgprStaggerUIter], s[sgprStaggerUIter], 2 // shift by StaggerUStride


/* SRDs += (StaggerUIter) * GlobalReadIncsA+0 */
s_mul_hi_u32 s63, s[sgprStaggerUIter], s[sgprGlobalReadIncsA+0] //  stagger byte offset
s_mul_i32 s62, s[sgprStaggerUIter], s[sgprGlobalReadIncsA+0] //  stagger byte offset
s_mul_hi_u32 s[sgprWrapUA+1], s[sgprLoopCounterL], s[sgprGlobalReadIncsA+0] // Number of bytes accessed by the unroll loop
s_mul_i32 s[sgprWrapUA+0], s[sgprLoopCounterL], s[sgprGlobalReadIncsA+0] // Number of bytes accessed by the unroll loop
s_sub_u32 s[sgprWrapUA+0], s[sgprGlobalReadIncsA+0], s[sgprWrapUA+0] // remove one iteration
s_subb_u32 s[sgprWrapUA+1], 0, s[sgprWrapUA+1]     // remove one iteration
s_add_u32 s[sgprSrdA+0], s[sgprSrdA+0], s62        // gra SRD += inc(lower)
s_addc_u32  s[sgprSrdA+1], s[sgprSrdA+1], s63      // gra SRD += inc(upper)
s_sub_u32 s[sgprShadowLimitA+0], s[sgprShadowLimitA+0], s62 // limit -= inc)
s_subb_u32 s[sgprShadowLimitA+1], s[sgprShadowLimitA+1], s63 // limit -= inc)
s_cmp_eq_u32 s[sgprShadowLimitA+1], 0              // are we within 2^32?
s_cselect_b32 s[sgprSrdA+2], s[sgprShadowLimitA+0], BufferLimitA // Move shadow to real if we are within 2^32


/* SRDs += (StaggerUIter) * GlobalReadIncsB+0 */
s_mul_hi_u32 s63, s[sgprStaggerUIter], s[sgprGlobalReadIncsB+0] //  stagger byte offset
s_mul_i32 s62, s[sgprStaggerUIter], s[sgprGlobalReadIncsB+0] //  stagger byte offset
s_mul_hi_u32 s[sgprWrapUB+1], s[sgprLoopCounterL], s[sgprGlobalReadIncsB+0] // Number of bytes accessed by the unroll loop
s_mul_i32 s[sgprWrapUB+0], s[sgprLoopCounterL], s[sgprGlobalReadIncsB+0] // Number of bytes accessed by the unroll loop
s_sub_u32 s[sgprWrapUB+0], s[sgprGlobalReadIncsB+0], s[sgprWrapUB+0] // remove one iteration
s_subb_u32 s[sgprWrapUB+1], 0, s[sgprWrapUB+1]     // remove one iteration
s_add_u32 s[sgprSrdB+0], s[sgprSrdB+0], s62        // gra SRD += inc(lower)
s_addc_u32  s[sgprSrdB+1], s[sgprSrdB+1], s63      // gra SRD += inc(upper)
s_sub_u32 s[sgprShadowLimitB+0], s[sgprShadowLimitB+0], s62 // limit -= inc)
s_subb_u32 s[sgprShadowLimitB+1], s[sgprShadowLimitB+1], s63 // limit -= inc)
s_cmp_eq_u32 s[sgprShadowLimitB+1], 0              // are we within 2^32?
s_cselect_b32 s[sgprSrdB+2], s[sgprShadowLimitB+0], BufferLimitB // Move shadow to real if we are within 2^32
s_add_u32 s[sgprStaggerUIter], s[sgprStaggerUIter], 2 // Subtract (PGR-1); StaggerUIter now contains target iteration to wrap

/* local read addresses: init pointers a */


/* localReadInitPointers */

/* local read addresses: init pointers b */


/* localReadInitPointers */


/* prefetch: global -> local */

s_cmp_eq_u32 s[sgprLoopCounterL], 0                // at last iteration?
s_cbranch_scc1 ShadowInitStart_10                  // skip to ShadowInitStart iter b/c numIter==0


_buffer_load_b128 v[vgprG2LA+0:vgprG2LA+0+3], v[vgprGlobalReadOffsetA+0], s[sgprSrdA:sgprSrdA+3], 0, offen offset:0 // G -> Reg 0_0_0_0
_buffer_load_b128 v[vgprG2LA+4:vgprG2LA+4+3], v[vgprGlobalReadOffsetA+1], s[sgprSrdA:sgprSrdA+3], 0, offen offset:0 // G -> Reg 1_0_0_0
_buffer_load_b128 v[vgprG2LA+8:vgprG2LA+8+3], v[vgprGlobalReadOffsetA+2], s[sgprSrdA:sgprSrdA+3], 0, offen offset:0 // G -> Reg 2_0_0_0


_buffer_load_b128 v[vgprG2LB+0:vgprG2LB+0+3], v[vgprGlobalReadOffsetB+0], s[sgprSrdB:sgprSrdB+3], 0, offen offset:0 // G -> Reg 0_0_0_0
_buffer_load_b128 v[vgprG2LB+4:vgprG2LB+4+3], v[vgprGlobalReadOffsetB+1], s[sgprSrdB:sgprSrdB+3], 0, offen offset:0 // G -> Reg 0_0_1_0


/* global read inc A loopL */
s_add_u32 s64, s[sgprLoopCounterL], 1              // remove pf(1)
s_cmp_eq_u32 s[sgprStaggerUIter], s64              // Is this wrapIter? (pf)
s_cselect_b32 s62, s[sgprWrapUA+0], s[sgprGlobalReadIncsA+0] // incLower <- ?
s_cselect_b32 s63, s[sgprWrapUA+1], 0              // incUpper <- ?
s_add_u32 s[sgprSrdA+0], s[sgprSrdA+0], s62        // gra SRD += inc(lower)
s_addc_u32  s[sgprSrdA+1], s[sgprSrdA+1], s63      // gra SRD += inc(upper)
s_sub_u32 s[sgprShadowLimitA+0], s[sgprShadowLimitA+0], s62 // limit -= inc)
s_subb_u32 s[sgprShadowLimitA+1], s[sgprShadowLimitA+1], s63 // limit -= inc)
s_cmp_eq_u32 s[sgprShadowLimitA+1], 0              // are we within 2^32?
s_cselect_b32 s[sgprSrdA+2], s[sgprShadowLimitA+0], BufferLimitA // Move shadow to real if we are within 2^32

/* global read inc B loopL */
s_add_u32 s64, s[sgprLoopCounterL], 1              // remove pf(1)
s_cmp_eq_u32 s[sgprStaggerUIter], s64              // Is this wrapIter? (pf)
s_cselect_b32 s62, s[sgprWrapUB+0], s[sgprGlobalReadIncsB+0] // incLower <- ?
s_cselect_b32 s63, s[sgprWrapUB+1], 0              // incUpper <- ?
s_add_u32 s[sgprSrdB+0], s[sgprSrdB+0], s62        // gra SRD += inc(lower)
s_addc_u32  s[sgprSrdB+1], s[sgprSrdB+1], s63      // gra SRD += inc(upper)
s_sub_u32 s[sgprShadowLimitB+0], s[sgprShadowLimitB+0], s62 // limit -= inc)
s_subb_u32 s[sgprShadowLimitB+1], s[sgprShadowLimitB+1], s63 // limit -= inc)
s_cmp_eq_u32 s[sgprShadowLimitB+1], 0              // are we within 2^32?
s_cselect_b32 s[sgprSrdB+2], s[sgprShadowLimitB+0], BufferLimitB // Move shadow to real if we are within 2^32


/******************************************/
/* End setupNewTile, isPap=False             */
/******************************************/

ShadowInitStart_10: // 

s_mov_b32 s[sgprSrdD+2], BufferOOB                 // 
s_mov_b32 s[sgprSrdD+3], Srd127_96                 // Set bits 127_96 in post-loop SRD

s_mov_b32 s[sgprSrdC+2], BufferOOB                 // 
s_mov_b32 s[sgprSrdC+3], Srd127_96                 // Set bits 127_96 in post-loop SRD


s_mul_i32 s64, MT1, s[sgprWorkGroup1]              // <- wg1*MT1
s_mul_hi_u32 s63, s64, s[sgprStrideC1J]            // CScale s64 by Stride
s_mul_i32 s62, s64, s[sgprStrideC1J]               // CScale s64 by Stride
s_lshl_b64 s[62:63], s[62:63], 2                   // scale by bpe
s_add_u32 s[sgprSrdC+0], s[sgprSrdC+0], s62        // add lo to SRD
s_addc_u32 s[sgprSrdC+1], s[sgprSrdC+1], s63       // add hi to SRD
s_mul_hi_u32 s63, s64, s[sgprStrideD1J]            // Scale s64 by Stride
s_mul_i32 s62, s64, s[sgprStrideD1J]               // Scale s64 by Stride
s_lshl_b64 s[62:63], s[62:63], 2                   // scale by bpe
s_add_u32 s[sgprSrdD+0], s[sgprSrdD+0], s62        // add lo to SRD
s_addc_u32 s[sgprSrdD+1], s[sgprSrdD+1], s63       // add hi to SRD

s_mul_hi_u32 s63, s[sgprWorkGroup2], s[sgprStrideCK] // CScale s[sgprWorkGroup2] by Stride
s_mul_i32 s62, s[sgprWorkGroup2], s[sgprStrideCK]  // CScale s[sgprWorkGroup2] by Stride
s_lshl_b64 s[62:63], s[62:63], 2                   // scale by bpe
s_add_u32 s[sgprSrdC+0], s[sgprSrdC+0], s62        // add lo to SRD
s_addc_u32 s[sgprSrdC+1], s[sgprSrdC+1], s63       // add hi to SRD
s_mul_hi_u32 s63, s[sgprWorkGroup2], s[sgprStrideDK] // Scale s[sgprWorkGroup2] by Stride
s_mul_i32 s62, s[sgprWorkGroup2], s[sgprStrideDK]  // Scale s[sgprWorkGroup2] by Stride
s_lshl_b64 s[62:63], s[62:63], 2                   // scale by bpe
s_add_u32 s[sgprSrdD+0], s[sgprSrdD+0], s62        // add lo to SRD
s_addc_u32 s[sgprSrdD+1], s[sgprSrdD+1], s63       // add hi to SRD

// GSU Output Buffer offset: Free0 + (Free1-1)*StrideC1J + (Free2-1)*StrideCK * GSUIdx * bpe
s_mul_hi_u32 s11, s[sgprSizesFree+0], s[sgprGSUSumIdx] // Free0
s_mul_i32 s10, s[sgprSizesFree+0], s[sgprGSUSumIdx] // Free0
s_sub_u32 s65, s[sgprSizesFree+1], 1               // Free1
s_mul_i32 s65, s65, s[sgprGSUSumIdx]               // Free1
s_mul_hi_u32 s67, s65, s[sgprStrideC1J]            // Free1
s_mul_i32 s66, s65, s[sgprStrideC1J]               // Free1
s_add_u32 s10, s10, s66                            // Free1
s_addc_u32 s11, s11, s67                           // Free1
s_sub_u32 s65, s[sgprSizesFree+2], 1               // Free2
s_mul_i32 s65, s65, s[sgprGSUSumIdx]               // Free2
s_mul_hi_u32 s67, s65, s[sgprStrideCK]             // Free2
s_mul_i32 s66, s65, s[sgprStrideCK]                // Free2
s_add_u32 s10, s10, s66                            // Free2
s_addc_u32 s11, s11, s67                           // Free2
s_lshl_b64 s[10:11], s[10:11], 2                   // scale by bpe
s_add_u32 s[sgprSrdD+0], s[sgprSrdD+0], s10        // add lo GSU offset to SRD
s_addc_u32 s[sgprSrdD+1], s[sgprSrdD+1], s11       // add hi GSU offset to SRD


/* initC: remove C-tile 0-96 from pool */

/* initC: remove AB-tile 96-164 from pool */
v_mov_b64 v[vgprValuC+0:vgprValuC+0+1], 0x0        // initC
v_mov_b64 v[vgprValuC+2:vgprValuC+2+1], 0x0        // initC
v_mov_b64 v[vgprValuC+4:vgprValuC+4+1], 0x0        // initC
v_mov_b64 v[vgprValuC+6:vgprValuC+6+1], 0x0        // initC
v_mov_b64 v[vgprValuC+8:vgprValuC+8+1], 0x0        // initC
v_mov_b64 v[vgprValuC+10:vgprValuC+10+1], 0x0      // initC
v_mov_b64 v[vgprValuC+12:vgprValuC+12+1], 0x0      // initC
	;; [unrolled: 1-line block ×43, first 2 shown]

s_cmp_eq_u32 s[sgprLoopCounterL], 0                // at last iteration?

/* after InitC, skip to end of prefetch last iter if numIter==0 */
s_cbranch_scc0 label_NoBranch_11                   // Only branch on scc1
s_getpc_B64 s[62:63]                               // addr of next instr
s_add_i32 s64, PrefetchGlobalLastIterEnd_5, 0x4    // target branch offset
s_add_u32 s62, s62, s64                            // add target branch offset
s_addc_u32 s63, s63, 0                             // add high and carry
s_setpc_b64 s[62:63]                               // branch to PrefetchGlobalLastIterEnd_5
label_NoBranch_11:

s_waitcnt vmcnt(0)                                 // lgkmcnt=-1 vmcnt=0 8wait for global read


/* local write a */
_ds_store_b128 v[vgprLocalWriteAddrA], v[vgprG2LA+0:vgprG2LA+0+3] offset:0 // lwoA_0_0_0_0 = (0*LSCA) + (0*LSPA)(*MT0I+PAD) = 0
_ds_store_b128 v[vgprLocalWriteAddrA], v[vgprG2LA+4:vgprG2LA+4+3] offset:128 // lwoA_1_0_0_0 = (1*LSCA) + (0*LSPA)(*MT0I+PAD) = 128
_ds_store_b128 v[vgprLocalWriteAddrA], v[vgprG2LA+8:vgprG2LA+8+3] offset:256 // lwoA_2_0_0_0 = (2*LSCA) + (0*LSPA)(*MT0I+PAD) = 256

/* local write b */
_ds_store_b128 v[vgprLocalWriteAddrB], v[vgprG2LB+0:vgprG2LB+0+3] offset:0 // lwoB_0_0_0_0 = (0*LSCB) + (0*LSPB)(*MT1J+PAD) = 0
_ds_store_b128 v[vgprLocalWriteAddrB], v[vgprG2LB+4:vgprG2LB+4+3] offset:4096 // lwoB_0_0_1_0 = (0*LSCB) + (1*LSPB)(*MT1J+PAD) = 4096


/* local write swap a */


/* (EPS=1) local write swap internal offset -> 32768 */


/* local write swap b */


/* (EPS=1) local write swap internal offset -> 32768 */


	;; [unrolled: 1-line block ×3, first 2 shown]
s_cmp_eq_u32 s[sgprLoopCounterL] 0x1               // PGR=2 but only 1 loop
s_cbranch_scc1 label_0012                          // PGR=2 but only 1 loop


_buffer_load_b128 v[vgprG2LA+0:vgprG2LA+0+3], v[vgprGlobalReadOffsetA+0], s[sgprSrdA:sgprSrdA+3], 0, offen offset:0 // G -> Reg 0_0_0_0
_buffer_load_b128 v[vgprG2LA+4:vgprG2LA+4+3], v[vgprGlobalReadOffsetA+1], s[sgprSrdA:sgprSrdA+3], 0, offen offset:0 // G -> Reg 1_0_0_0
_buffer_load_b128 v[vgprG2LA+8:vgprG2LA+8+3], v[vgprGlobalReadOffsetA+2], s[sgprSrdA:sgprSrdA+3], 0, offen offset:0 // G -> Reg 2_0_0_0


_buffer_load_b128 v[vgprG2LB+0:vgprG2LB+0+3], v[vgprGlobalReadOffsetB+0], s[sgprSrdB:sgprSrdB+3], 0, offen offset:0 // G -> Reg 0_0_0_0
_buffer_load_b128 v[vgprG2LB+4:vgprG2LB+4+3], v[vgprGlobalReadOffsetB+1], s[sgprSrdB:sgprSrdB+3], 0, offen offset:0 // G -> Reg 0_0_1_0

label_0012:                                        // 

s_waitcnt lgkmcnt(0)                               // lgkmcnt=0 vmcnt=-10prefetch wait for local write

// Skip force waitcnt0
s_barrier //


/* local read prefetch a */

_ds_load_u16 v[vgprValuA_X0_I0+0], v[vgprLocalReadAddrA] offset:0 // L -> Reg lro=0 swapByteOffset=0 ti=64 vIdx=0 rIdx=0 oIdx=0 buffer=0 iui=0
_ds_load_u16_d16_hi v[vgprValuA_X0_I0_D1+0], v[vgprLocalReadAddrA] offset:384 // L -> Reg lro=0 swapByteOffset=0 ti=64 vIdx=0 rIdx=1 oIdx=0 buffer=0 iui=0
_ds_load_u16 v[vgprValuA_X0_I0+1], v[vgprLocalReadAddrA] offset:768 // L -> Reg lro=0 swapByteOffset=0 ti=64 vIdx=0 rIdx=2 oIdx=0 buffer=0 iui=0
_ds_load_u16_d16_hi v[vgprValuA_X0_I0_D1+1], v[vgprLocalReadAddrA] offset:1152 // L -> Reg lro=0 swapByteOffset=0 ti=64 vIdx=0 rIdx=3 oIdx=0 buffer=0 iui=0
	;; [unrolled: 2-line block ×6, first 2 shown]


/* local read prefetch b */

_ds_load_b32 v[vgprValuB_X0_I0_D0+0], v[vgprLocalReadAddrB] offset:0 // L -> Reg lro=0 swapByteOffset=0 ti=128 vIdx=0 rIdx=0 oIdx=0 buffer=0 iui=0
_ds_load_b32 v[vgprValuB_X0_I0_D1+0], v[vgprLocalReadAddrB] offset:256 // L -> Reg lro=0 swapByteOffset=0 ti=128 vIdx=0 rIdx=1 oIdx=0 buffer=0 iui=0
_ds_load_b32 v[vgprValuB_X0_I0_D2+0], v[vgprLocalReadAddrB] offset:512 // L -> Reg lro=0 swapByteOffset=0 ti=128 vIdx=0 rIdx=2 oIdx=0 buffer=0 iui=0
_ds_load_b32 v[vgprValuB_X0_I0_D3+0], v[vgprLocalReadAddrB] offset:768 // L -> Reg lro=0 swapByteOffset=0 ti=128 vIdx=0 rIdx=3 oIdx=0 buffer=0 iui=0


/* local read inc a */

/* N/A, lro->1536 */
/* self.localReadDoCntA 1 self.localReadDoCntB 1 */


/* local read inc b */

/* N/A, lro->1024 */
/* self.localReadDoCntA 1 self.localReadDoCntB 1 */


	;; [unrolled: 1-line block ×3, first 2 shown]
/******************************************/
/* Unrolled Loop(s) - Begin               */
/******************************************/

openLoopL_13:
s_cmp_eq_u32 s[sgprLoopCounterL], 0x1              // LoopCounterL < EndCounter
s_cbranch_scc1 label_0014                          // PGR=2 but only 1 loop, toPGR1
s_cmp_le_u32 s[sgprLoopCounterL], 0x2              // LoopCounterL < EndCounter
s_cbranch_scc1 LoopEndL_evenexit_4                 // do not enter LoopL
LoopBeginL_1:


/******************************************/
/* Unrolled Loop 1/2 - Begin              */
/******************************************/

label_0015: // LoopCopy1 


/* Begin Each Unroll: Check VGPR.checkin for INT8 LW */



/* iter 0 */

/*  grEndMfmaIndex:6, lwStartMfmaIndex:8, lwEndMfmaIndex:17  */
/*  numMfmaForLR:5, barrierMfmaIndex:18, LocalWritePerMfma:0.500 */
/*  mfmaIndex:0  */
s_waitcnt lgkmcnt(0)                               // lgkmcnt=0 vmcnt=-1wait for prior local read local write old=0, new=0 newLW=0 newLR=0
/* pack scheduling: packAIdx:2, packBIdx:2 */
v_or_b32 v[vgprValuA_X0_I0+0], v[vgprValuA_X0_I0+0], v[vgprValuA_X0_I0_D1+0] // pack two half Vgpr to one Vgpr
v_or_b32 v[vgprValuA_X0_I0+1], v[vgprValuA_X0_I0+1], v[vgprValuA_X0_I0_D1+1] // pack two half Vgpr to one Vgpr
v_perm_b32 v[vgprValuB_X0_I0+0], v[vgprValuB_X0_I0_D1+0], v[vgprValuB_X0_I0_D0+0], s[sgprPackKForV0] // select K=01 for vector=0
v_perm_b32 v[vgprValuB_X0_I0+1], v[vgprValuB_X0_I0_D3+0], v[vgprValuB_X0_I0_D2+0], s[sgprPackKForV0] // select K=23 for vector=0
v_or_b32 v[vgprValuA_X0_I0+2], v[vgprValuA_X0_I0+2], v[vgprValuA_X0_I0_D1+2] // pack two half Vgpr to one Vgpr
v_or_b32 v[vgprValuA_X0_I0+3], v[vgprValuA_X0_I0+3], v[vgprValuA_X0_I0_D1+3] // pack two half Vgpr to one Vgpr
v_mfma_f32_32x32x8_f16 v[0+0:15+0], v[vgprValuA_X0_I0+0+0+0:vgprValuA_X0_I0+0+0+0+1], v[vgprValuB_X0_I0+0+0+0:vgprValuB_X0_I0+0+0+0+1], v[0:15]
/*  mfmaIndex:1  */
_ds_load_u16 v[vgprValuA_X1_I0+0], v[vgprLocalReadAddrA] offset:3072 // L -> Reg lro=1536 swapByteOffset=0 ti=64 vIdx=0 rIdx=0 oIdx=0 buffer=1 iui=0
_ds_load_u16_d16_hi v[vgprValuA_X1_I0_D1+0], v[vgprLocalReadAddrA] offset:3456 // L -> Reg lro=1536 swapByteOffset=0 ti=64 vIdx=0 rIdx=1 oIdx=0 buffer=1 iui=0
_ds_load_u16 v[vgprValuA_X1_I0+1], v[vgprLocalReadAddrA] offset:3840 // L -> Reg lro=1536 swapByteOffset=0 ti=64 vIdx=0 rIdx=2 oIdx=0 buffer=1 iui=0
_ds_load_u16_d16_hi v[vgprValuA_X1_I0_D1+1], v[vgprLocalReadAddrA] offset:4224 // L -> Reg lro=1536 swapByteOffset=0 ti=64 vIdx=0 rIdx=3 oIdx=0 buffer=1 iui=0

/* global read inc A loopL */
s_cmp_eq_u32 s[sgprLoopCounterL], s[sgprStaggerUIter] // Is this the wrapIter?
s_cselect_b32 s62, s[sgprWrapUA+0], s[sgprGlobalReadIncsA+0] // incLower <- ?
s_cselect_b32 s63, s[sgprWrapUA+1], 0              // incUpper <- ?
/* pack scheduling: packAIdx:4, packBIdx:2 */
v_or_b32 v[vgprValuA_X0_I0+4], v[vgprValuA_X0_I0+4], v[vgprValuA_X0_I0_D1+4] // pack two half Vgpr to one Vgpr
v_or_b32 v[vgprValuA_X0_I0+5], v[vgprValuA_X0_I0+5], v[vgprValuA_X0_I0_D1+5] // pack two half Vgpr to one Vgpr
v_perm_b32 v[vgprValuB_X0_I0+2], v[vgprValuB_X0_I0_D1+0], v[vgprValuB_X0_I0_D0+0], s[sgprPackKForV1] // select K=01 for vector=1
v_perm_b32 v[vgprValuB_X0_I0+3], v[vgprValuB_X0_I0_D3+0], v[vgprValuB_X0_I0_D2+0], s[sgprPackKForV1] // select K=23 for vector=1
v_mfma_f32_32x32x8_f16 v[16+0:31+0], v[vgprValuA_X0_I0+2+0+0:vgprValuA_X0_I0+2+0+0+1], v[vgprValuB_X0_I0+0+0+0:vgprValuB_X0_I0+0+0+0+1], v[16:31]
/*  mfmaIndex:2  */
_ds_load_b32 v[vgprValuB_X1_I0_D0+0], v[vgprLocalReadAddrB] offset:2048 // L -> Reg lro=1024 swapByteOffset=0 ti=128 vIdx=0 rIdx=0 oIdx=0 buffer=1 iui=0
_ds_load_b32 v[vgprValuB_X1_I0_D1+0], v[vgprLocalReadAddrB] offset:2304 // L -> Reg lro=1024 swapByteOffset=0 ti=128 vIdx=0 rIdx=1 oIdx=0 buffer=1 iui=0
_ds_load_b32 v[vgprValuB_X1_I0_D2+0], v[vgprLocalReadAddrB] offset:2560 // L -> Reg lro=1024 swapByteOffset=0 ti=128 vIdx=0 rIdx=2 oIdx=0 buffer=1 iui=0
s_add_u32 s[sgprSrdA+0], s[sgprSrdA+0], s62        // gra SRD += inc(lower)
s_addc_u32  s[sgprSrdA+1], s[sgprSrdA+1], s63      // gra SRD += inc(upper)
s_sub_u32 s[sgprShadowLimitA+0], s[sgprShadowLimitA+0], s62 // limit -= inc)
v_mfma_f32_32x32x8_f16 v[32+0:47+0], v[vgprValuA_X0_I0+4+0+0:vgprValuA_X0_I0+4+0+0+1], v[vgprValuB_X0_I0+0+0+0:vgprValuB_X0_I0+0+0+0+1], v[32:47]
/*  mfmaIndex:3  */
_ds_load_b32 v[vgprValuB_X1_I0_D3+0], v[vgprLocalReadAddrB] offset:2816 // L -> Reg lro=1024 swapByteOffset=0 ti=128 vIdx=0 rIdx=3 oIdx=0 buffer=1 iui=0
_ds_load_u16 v[vgprValuA_X1_I0+2], v[vgprLocalReadAddrA] offset:3200 // L -> Reg lro=1536 swapByteOffset=0 ti=64 vIdx=1 rIdx=0 oIdx=0 buffer=1 iui=0
_ds_load_u16_d16_hi v[vgprValuA_X1_I0_D1+2], v[vgprLocalReadAddrA] offset:3584 // L -> Reg lro=1536 swapByteOffset=0 ti=64 vIdx=1 rIdx=1 oIdx=0 buffer=1 iui=0
s_subb_u32 s[sgprShadowLimitA+1], s[sgprShadowLimitA+1], s63 // limit -= inc)
s_cmp_eq_u32 s[sgprShadowLimitA+1], 0              // are we within 2^32?
s_cselect_b32 s[sgprSrdA+2], s[sgprShadowLimitA+0], BufferLimitA // Move shadow to real if we are within 2^32
v_mfma_f32_32x32x8_f16 v[80+0:95+0], v[vgprValuA_X0_I0+4+0+0:vgprValuA_X0_I0+4+0+0+1], v[vgprValuB_X0_I0+2+0+0:vgprValuB_X0_I0+2+0+0+1], v[80:95]
/*  mfmaIndex:4  */
_ds_load_u16 v[vgprValuA_X1_I0+3], v[vgprLocalReadAddrA] offset:3968 // L -> Reg lro=1536 swapByteOffset=0 ti=64 vIdx=1 rIdx=2 oIdx=0 buffer=1 iui=0
_ds_load_u16_d16_hi v[vgprValuA_X1_I0_D1+3], v[vgprLocalReadAddrA] offset:4352 // L -> Reg lro=1536 swapByteOffset=0 ti=64 vIdx=1 rIdx=3 oIdx=0 buffer=1 iui=0
_ds_load_u16 v[vgprValuA_X1_I0+4], v[vgprLocalReadAddrA] offset:3328 // L -> Reg lro=1536 swapByteOffset=0 ti=64 vIdx=2 rIdx=0 oIdx=0 buffer=1 iui=0

/* global read inc B loopL */
s_cmp_eq_u32 s[sgprLoopCounterL], s[sgprStaggerUIter] // Is this the wrapIter?
s_cselect_b32 s62, s[sgprWrapUB+0], s[sgprGlobalReadIncsB+0] // incLower <- ?
s_cselect_b32 s63, s[sgprWrapUB+1], 0              // incUpper <- ?
v_mfma_f32_32x32x8_f16 v[64+0:79+0], v[vgprValuA_X0_I0+2+0+0:vgprValuA_X0_I0+2+0+0+1], v[vgprValuB_X0_I0+2+0+0:vgprValuB_X0_I0+2+0+0+1], v[64:79]
/*  mfmaIndex:5  */
_ds_load_u16_d16_hi v[vgprValuA_X1_I0_D1+4], v[vgprLocalReadAddrA] offset:3712 // L -> Reg lro=1536 swapByteOffset=0 ti=64 vIdx=2 rIdx=1 oIdx=0 buffer=1 iui=0
_ds_load_u16 v[vgprValuA_X1_I0+5], v[vgprLocalReadAddrA] offset:4096 // L -> Reg lro=1536 swapByteOffset=0 ti=64 vIdx=2 rIdx=2 oIdx=0 buffer=1 iui=0
_ds_load_u16_d16_hi v[vgprValuA_X1_I0_D1+5], v[vgprLocalReadAddrA] offset:4480 // L -> Reg lro=1536 swapByteOffset=0 ti=64 vIdx=2 rIdx=3 oIdx=0 buffer=1 iui=0
s_add_u32 s[sgprSrdB+0], s[sgprSrdB+0], s62        // gra SRD += inc(lower)
s_addc_u32  s[sgprSrdB+1], s[sgprSrdB+1], s63      // gra SRD += inc(upper)
s_sub_u32 s[sgprShadowLimitB+0], s[sgprShadowLimitB+0], s62 // limit -= inc)
v_mfma_f32_32x32x8_f16 v[48+0:63+0], v[vgprValuA_X0_I0+0+0+0:vgprValuA_X0_I0+0+0+0+1], v[vgprValuB_X0_I0+2+0+0:vgprValuB_X0_I0+2+0+0+1], v[48:63]
/* numPrefetchIter=0 */
/* dataAtIterA=-1 numReadsIterA=1 skipReadsIterA=1 readsPerIterA=12 */
/* dataAtIterB=-1 numReadsIterB=1 skipReadsIterB=1 readsPerIterB=4 */


/* iter 1 */

/*  grEndMfmaIndex:6, lwStartMfmaIndex:8, lwEndMfmaIndex:17  */
/*  numMfmaForLR:5, barrierMfmaIndex:18, LocalWritePerMfma:0.500 */
/*  mfmaIndex:6  */
_ds_load_u16 v[vgprValuA_X2_I0+0], v[vgprLocalReadAddrA] offset:6144 // L -> Reg lro=3072 swapByteOffset=0 ti=64 vIdx=0 rIdx=0 oIdx=0 buffer=2 iui=0
_ds_load_u16_d16_hi v[vgprValuA_X2_I0_D1+0], v[vgprLocalReadAddrA] offset:6528 // L -> Reg lro=3072 swapByteOffset=0 ti=64 vIdx=0 rIdx=1 oIdx=0 buffer=2 iui=0
_ds_load_u16 v[vgprValuA_X2_I0+1], v[vgprLocalReadAddrA] offset:6912 // L -> Reg lro=3072 swapByteOffset=0 ti=64 vIdx=0 rIdx=2 oIdx=0 buffer=2 iui=0
s_subb_u32 s[sgprShadowLimitB+1], s[sgprShadowLimitB+1], s63 // limit -= inc)
s_cmp_eq_u32 s[sgprShadowLimitB+1], 0              // are we within 2^32?
s_cselect_b32 s[sgprSrdB+2], s[sgprShadowLimitB+0], BufferLimitB // Move shadow to real if we are within 2^32
s_waitcnt lgkmcnt(3)                               // lgkmcnt=0 vmcnt=-1wait for prior local read local write old=0, new=3 newLW=0 newLR=3
/* pack scheduling: packAIdx:2, packBIdx:2 */
v_or_b32 v[vgprValuA_X1_I0+0], v[vgprValuA_X1_I0+0], v[vgprValuA_X1_I0_D1+0] // pack two half Vgpr to one Vgpr
v_or_b32 v[vgprValuA_X1_I0+1], v[vgprValuA_X1_I0+1], v[vgprValuA_X1_I0_D1+1] // pack two half Vgpr to one Vgpr
v_perm_b32 v[vgprValuB_X1_I0+0], v[vgprValuB_X1_I0_D1+0], v[vgprValuB_X1_I0_D0+0], s[sgprPackKForV0] // select K=01 for vector=0
v_perm_b32 v[vgprValuB_X1_I0+1], v[vgprValuB_X1_I0_D3+0], v[vgprValuB_X1_I0_D2+0], s[sgprPackKForV0] // select K=23 for vector=0
v_or_b32 v[vgprValuA_X1_I0+2], v[vgprValuA_X1_I0+2], v[vgprValuA_X1_I0_D1+2] // pack two half Vgpr to one Vgpr
v_or_b32 v[vgprValuA_X1_I0+3], v[vgprValuA_X1_I0+3], v[vgprValuA_X1_I0_D1+3] // pack two half Vgpr to one Vgpr
v_mfma_f32_32x32x8_f16 v[0+0:15+0], v[vgprValuA_X1_I0+0+0+0:vgprValuA_X1_I0+0+0+0+1], v[vgprValuB_X1_I0+0+0+0:vgprValuB_X1_I0+0+0+0+1], v[0:15]
/*  mfmaIndex:7  */
_ds_load_u16_d16_hi v[vgprValuA_X2_I0_D1+1], v[vgprLocalReadAddrA] offset:7296 // L -> Reg lro=3072 swapByteOffset=0 ti=64 vIdx=0 rIdx=3 oIdx=0 buffer=2 iui=0
_ds_load_b32 v[vgprValuB_X2_I0_D0+0], v[vgprLocalReadAddrB] offset:4096 // L -> Reg lro=2048 swapByteOffset=0 ti=128 vIdx=0 rIdx=0 oIdx=0 buffer=2 iui=0
_ds_load_b32 v[vgprValuB_X2_I0_D1+0], v[vgprLocalReadAddrB] offset:4352 // L -> Reg lro=2048 swapByteOffset=0 ti=128 vIdx=0 rIdx=1 oIdx=0 buffer=2 iui=0
/* pack scheduling: packAIdx:4, packBIdx:2 */
v_or_b32 v[vgprValuA_X1_I0+4], v[vgprValuA_X1_I0+4], v[vgprValuA_X1_I0_D1+4] // pack two half Vgpr to one Vgpr
v_or_b32 v[vgprValuA_X1_I0+5], v[vgprValuA_X1_I0+5], v[vgprValuA_X1_I0_D1+5] // pack two half Vgpr to one Vgpr
v_perm_b32 v[vgprValuB_X1_I0+2], v[vgprValuB_X1_I0_D1+0], v[vgprValuB_X1_I0_D0+0], s[sgprPackKForV1] // select K=01 for vector=1
v_perm_b32 v[vgprValuB_X1_I0+3], v[vgprValuB_X1_I0_D3+0], v[vgprValuB_X1_I0_D2+0], s[sgprPackKForV1] // select K=23 for vector=1
v_mfma_f32_32x32x8_f16 v[16+0:31+0], v[vgprValuA_X1_I0+2+0+0:vgprValuA_X1_I0+2+0+0+1], v[vgprValuB_X1_I0+0+0+0:vgprValuB_X1_I0+0+0+0+1], v[16:31]
/*  mfmaIndex:8  */
_ds_load_b32 v[vgprValuB_X2_I0_D2+0], v[vgprLocalReadAddrB] offset:4608 // L -> Reg lro=2048 swapByteOffset=0 ti=128 vIdx=0 rIdx=2 oIdx=0 buffer=2 iui=0
_ds_load_b32 v[vgprValuB_X2_I0_D3+0], v[vgprLocalReadAddrB] offset:4864 // L -> Reg lro=2048 swapByteOffset=0 ti=128 vIdx=0 rIdx=3 oIdx=0 buffer=2 iui=0
_ds_load_u16 v[vgprValuA_X2_I0+2], v[vgprLocalReadAddrA] offset:6272 // L -> Reg lro=3072 swapByteOffset=0 ti=64 vIdx=1 rIdx=0 oIdx=0 buffer=2 iui=0
/* sched write - iter 1 writesPerItem=1 */
s_waitcnt vmcnt(0)                                 // lgkmcnt=-1 vmcnt=0wait for global read before writing to local
_ds_store_b128 v[vgprLocalWriteAddrA], v[vgprG2LA+0:vgprG2LA+0+3] offset:32768 // lwoA_0_0_0_0 = (0*LSCA) + (0*LSPA)(*MT0I+PAD) = 32768
v_mfma_f32_32x32x8_f16 v[32+0:47+0], v[vgprValuA_X1_I0+4+0+0:vgprValuA_X1_I0+4+0+0+1], v[vgprValuB_X1_I0+0+0+0:vgprValuB_X1_I0+0+0+0+1], v[32:47]
/*  mfmaIndex:9  */
_ds_load_u16_d16_hi v[vgprValuA_X2_I0_D1+2], v[vgprLocalReadAddrA] offset:6656 // L -> Reg lro=3072 swapByteOffset=0 ti=64 vIdx=1 rIdx=1 oIdx=0 buffer=2 iui=0
_ds_load_u16 v[vgprValuA_X2_I0+3], v[vgprLocalReadAddrA] offset:7040 // L -> Reg lro=3072 swapByteOffset=0 ti=64 vIdx=1 rIdx=2 oIdx=0 buffer=2 iui=0
_ds_load_u16_d16_hi v[vgprValuA_X2_I0_D1+3], v[vgprLocalReadAddrA] offset:7424 // L -> Reg lro=3072 swapByteOffset=0 ti=64 vIdx=1 rIdx=3 oIdx=0 buffer=2 iui=0
_buffer_load_b128 v[vgprG2LA+0:vgprG2LA+0+3], v[vgprGlobalReadOffsetA+0], s[sgprSrdA:sgprSrdA+3], 0, offen offset:0 // G -> Reg 0_0_0_0
v_mfma_f32_32x32x8_f16 v[80+0:95+0], v[vgprValuA_X1_I0+4+0+0:vgprValuA_X1_I0+4+0+0+1], v[vgprValuB_X1_I0+2+0+0:vgprValuB_X1_I0+2+0+0+1], v[80:95]
/*  mfmaIndex:10  */
_ds_load_u16 v[vgprValuA_X2_I0+4], v[vgprLocalReadAddrA] offset:6400 // L -> Reg lro=3072 swapByteOffset=0 ti=64 vIdx=2 rIdx=0 oIdx=0 buffer=2 iui=0
_ds_load_u16_d16_hi v[vgprValuA_X2_I0_D1+4], v[vgprLocalReadAddrA] offset:6784 // L -> Reg lro=3072 swapByteOffset=0 ti=64 vIdx=2 rIdx=1 oIdx=0 buffer=2 iui=0
/* sched write - iter 1 writesPerItem=1 */
s_waitcnt vmcnt(0)                                 // lgkmcnt=-1 vmcnt=0wait for global read before writing to local
_ds_store_b128 v[vgprLocalWriteAddrA], v[vgprG2LA+4:vgprG2LA+4+3] offset:32896 // lwoA_1_0_0_0 = (1*LSCA) + (0*LSPA)(*MT0I+PAD) = 32896
v_mfma_f32_32x32x8_f16 v[64+0:79+0], v[vgprValuA_X1_I0+2+0+0:vgprValuA_X1_I0+2+0+0+1], v[vgprValuB_X1_I0+2+0+0:vgprValuB_X1_I0+2+0+0+1], v[64:79]
/*  mfmaIndex:11  */
_ds_load_u16 v[vgprValuA_X2_I0+5], v[vgprLocalReadAddrA] offset:7168 // L -> Reg lro=3072 swapByteOffset=0 ti=64 vIdx=2 rIdx=2 oIdx=0 buffer=2 iui=0
_ds_load_u16_d16_hi v[vgprValuA_X2_I0_D1+5], v[vgprLocalReadAddrA] offset:7552 // L -> Reg lro=3072 swapByteOffset=0 ti=64 vIdx=2 rIdx=3 oIdx=0 buffer=2 iui=0
/* localReadsVacancy: latencyLeft 2 */
_ds_load_u16 v[vgprValuA_X3_I0+0], v[vgprLocalReadAddrA] offset:9216 // L -> Reg lro=4608 swapByteOffset=0 ti=64 vIdx=0 rIdx=0 oIdx=0 buffer=3 iui=0
_buffer_load_b128 v[vgprG2LA+4:vgprG2LA+4+3], v[vgprGlobalReadOffsetA+1], s[sgprSrdA:sgprSrdA+3], 0, offen offset:0 // G -> Reg 1_0_0_0
v_mfma_f32_32x32x8_f16 v[48+0:63+0], v[vgprValuA_X1_I0+0+0+0:vgprValuA_X1_I0+0+0+0+1], v[vgprValuB_X1_I0+2+0+0:vgprValuB_X1_I0+2+0+0+1], v[48:63]
/* numPrefetchIter=0 */
/* dataAtIterA=0 numReadsIterA=2 skipReadsIterA=1 readsPerIterA=12 */
/* dataAtIterB=0 numReadsIterB=2 skipReadsIterB=1 readsPerIterB=4 */


/* iter 2 (reset local read pointers iteration)  (swap and reset local write pointers iteration)  (swap local read pointers iteration)  */

/*  grEndMfmaIndex:6, lwStartMfmaIndex:8, lwEndMfmaIndex:17  */
/*  numMfmaForLR:5, barrierMfmaIndex:18, LocalWritePerMfma:0.500 */
/*  mfmaIndex:12  */
_ds_load_u16_d16_hi v[vgprValuA_X3_I0_D1+0], v[vgprLocalReadAddrA] offset:9600 // L -> Reg lro=4608 swapByteOffset=0 ti=64 vIdx=0 rIdx=1 oIdx=0 buffer=3 iui=0
_ds_load_u16 v[vgprValuA_X3_I0+1], v[vgprLocalReadAddrA] offset:9984 // L -> Reg lro=4608 swapByteOffset=0 ti=64 vIdx=0 rIdx=2 oIdx=0 buffer=3 iui=0
_ds_load_u16_d16_hi v[vgprValuA_X3_I0_D1+1], v[vgprLocalReadAddrA] offset:10368 // L -> Reg lro=4608 swapByteOffset=0 ti=64 vIdx=0 rIdx=3 oIdx=0 buffer=3 iui=0
/* sched write - iter 2 writesPerItem=1 */
s_waitcnt vmcnt(0)                                 // lgkmcnt=-1 vmcnt=0wait for global read before writing to local
_ds_store_b128 v[vgprLocalWriteAddrA], v[vgprG2LA+8:vgprG2LA+8+3] offset:33024 // lwoA_2_0_0_0 = (2*LSCA) + (0*LSPA)(*MT0I+PAD) = 33024
s_waitcnt lgkmcnt(5)                               // lgkmcnt=0 vmcnt=-1wait for prior local read local write old=1, new=5 newLW=1 newLR=3
/* pack scheduling: packAIdx:2, packBIdx:2 */
v_or_b32 v[vgprValuA_X2_I0+0], v[vgprValuA_X2_I0+0], v[vgprValuA_X2_I0_D1+0] // pack two half Vgpr to one Vgpr
v_or_b32 v[vgprValuA_X2_I0+1], v[vgprValuA_X2_I0+1], v[vgprValuA_X2_I0_D1+1] // pack two half Vgpr to one Vgpr
v_perm_b32 v[vgprValuB_X2_I0+0], v[vgprValuB_X2_I0_D1+0], v[vgprValuB_X2_I0_D0+0], s[sgprPackKForV0] // select K=01 for vector=0
v_perm_b32 v[vgprValuB_X2_I0+1], v[vgprValuB_X2_I0_D3+0], v[vgprValuB_X2_I0_D2+0], s[sgprPackKForV0] // select K=23 for vector=0
v_or_b32 v[vgprValuA_X2_I0+2], v[vgprValuA_X2_I0+2], v[vgprValuA_X2_I0_D1+2] // pack two half Vgpr to one Vgpr
v_or_b32 v[vgprValuA_X2_I0+3], v[vgprValuA_X2_I0+3], v[vgprValuA_X2_I0_D1+3] // pack two half Vgpr to one Vgpr
v_mfma_f32_32x32x8_f16 v[0+0:15+0], v[vgprValuA_X2_I0+0+0+0:vgprValuA_X2_I0+0+0+0+1], v[vgprValuB_X2_I0+0+0+0:vgprValuB_X2_I0+0+0+0+1], v[0:15]
/*  mfmaIndex:13  */
_ds_load_b32 v[vgprValuB_X3_I0_D0+0], v[vgprLocalReadAddrB] offset:6144 // L -> Reg lro=3072 swapByteOffset=0 ti=128 vIdx=0 rIdx=0 oIdx=0 buffer=3 iui=0
_ds_load_b32 v[vgprValuB_X3_I0_D1+0], v[vgprLocalReadAddrB] offset:6400 // L -> Reg lro=3072 swapByteOffset=0 ti=128 vIdx=0 rIdx=1 oIdx=0 buffer=3 iui=0
_ds_load_b32 v[vgprValuB_X3_I0_D2+0], v[vgprLocalReadAddrB] offset:6656 // L -> Reg lro=3072 swapByteOffset=0 ti=128 vIdx=0 rIdx=2 oIdx=0 buffer=3 iui=0
_buffer_load_b128 v[vgprG2LA+8:vgprG2LA+8+3], v[vgprGlobalReadOffsetA+2], s[sgprSrdA:sgprSrdA+3], 0, offen offset:0 // G -> Reg 2_0_0_0
/* pack scheduling: packAIdx:4, packBIdx:2 */
v_or_b32 v[vgprValuA_X2_I0+4], v[vgprValuA_X2_I0+4], v[vgprValuA_X2_I0_D1+4] // pack two half Vgpr to one Vgpr
v_or_b32 v[vgprValuA_X2_I0+5], v[vgprValuA_X2_I0+5], v[vgprValuA_X2_I0_D1+5] // pack two half Vgpr to one Vgpr
v_perm_b32 v[vgprValuB_X2_I0+2], v[vgprValuB_X2_I0_D1+0], v[vgprValuB_X2_I0_D0+0], s[sgprPackKForV1] // select K=01 for vector=1
v_perm_b32 v[vgprValuB_X2_I0+3], v[vgprValuB_X2_I0_D3+0], v[vgprValuB_X2_I0_D2+0], s[sgprPackKForV1] // select K=23 for vector=1
v_mfma_f32_32x32x8_f16 v[16+0:31+0], v[vgprValuA_X2_I0+2+0+0:vgprValuA_X2_I0+2+0+0+1], v[vgprValuB_X2_I0+0+0+0:vgprValuB_X2_I0+0+0+0+1], v[16:31]
/*  mfmaIndex:14  */
_ds_load_b32 v[vgprValuB_X3_I0_D3+0], v[vgprLocalReadAddrB] offset:6912 // L -> Reg lro=3072 swapByteOffset=0 ti=128 vIdx=0 rIdx=3 oIdx=0 buffer=3 iui=0
_ds_load_u16 v[vgprValuA_X3_I0+2], v[vgprLocalReadAddrA] offset:9344 // L -> Reg lro=4608 swapByteOffset=0 ti=64 vIdx=1 rIdx=0 oIdx=0 buffer=3 iui=0
_ds_load_u16_d16_hi v[vgprValuA_X3_I0_D1+2], v[vgprLocalReadAddrA] offset:9728 // L -> Reg lro=4608 swapByteOffset=0 ti=64 vIdx=1 rIdx=1 oIdx=0 buffer=3 iui=0
/* sched write - iter 2 writesPerItem=1 */
s_waitcnt vmcnt(0)                                 // lgkmcnt=-1 vmcnt=0wait for global read before writing to local
_ds_store_b128 v[vgprLocalWriteAddrB], v[vgprG2LB+0:vgprG2LB+0+3] offset:32768 // lwoB_0_0_0_0 = (0*LSCB) + (0*LSPB)(*MT1J+PAD) = 32768
v_mfma_f32_32x32x8_f16 v[32+0:47+0], v[vgprValuA_X2_I0+4+0+0:vgprValuA_X2_I0+4+0+0+1], v[vgprValuB_X2_I0+0+0+0:vgprValuB_X2_I0+0+0+0+1], v[32:47]
/*  mfmaIndex:15  */
_ds_load_u16 v[vgprValuA_X3_I0+3], v[vgprLocalReadAddrA] offset:10112 // L -> Reg lro=4608 swapByteOffset=0 ti=64 vIdx=1 rIdx=2 oIdx=0 buffer=3 iui=0
_ds_load_u16_d16_hi v[vgprValuA_X3_I0_D1+3], v[vgprLocalReadAddrA] offset:10496 // L -> Reg lro=4608 swapByteOffset=0 ti=64 vIdx=1 rIdx=3 oIdx=0 buffer=3 iui=0
_ds_load_u16 v[vgprValuA_X3_I0+4], v[vgprLocalReadAddrA] offset:9472 // L -> Reg lro=4608 swapByteOffset=0 ti=64 vIdx=2 rIdx=0 oIdx=0 buffer=3 iui=0
_buffer_load_b128 v[vgprG2LB+0:vgprG2LB+0+3], v[vgprGlobalReadOffsetB+0], s[sgprSrdB:sgprSrdB+3], 0, offen offset:0 // G -> Reg 0_0_0_0
v_mfma_f32_32x32x8_f16 v[80+0:95+0], v[vgprValuA_X2_I0+4+0+0:vgprValuA_X2_I0+4+0+0+1], v[vgprValuB_X2_I0+2+0+0:vgprValuB_X2_I0+2+0+0+1], v[80:95]
/*  mfmaIndex:16  */
_ds_load_u16_d16_hi v[vgprValuA_X3_I0_D1+4], v[vgprLocalReadAddrA] offset:9856 // L -> Reg lro=4608 swapByteOffset=0 ti=64 vIdx=2 rIdx=1 oIdx=0 buffer=3 iui=0
_ds_load_u16 v[vgprValuA_X3_I0+5], v[vgprLocalReadAddrA] offset:10240 // L -> Reg lro=4608 swapByteOffset=0 ti=64 vIdx=2 rIdx=2 oIdx=0 buffer=3 iui=0
/* sched write - iter 2 writesPerItem=1 */
s_waitcnt vmcnt(0)                                 // lgkmcnt=-1 vmcnt=0wait for global read before writing to local
_ds_store_b128 v[vgprLocalWriteAddrB], v[vgprG2LB+4:vgprG2LB+4+3] offset:36864 // lwoB_0_0_1_0 = (0*LSCB) + (1*LSPB)(*MT1J+PAD) = 36864
v_mfma_f32_32x32x8_f16 v[64+0:79+0], v[vgprValuA_X2_I0+2+0+0:vgprValuA_X2_I0+2+0+0+1], v[vgprValuB_X2_I0+2+0+0:vgprValuB_X2_I0+2+0+0+1], v[64:79]
/*  mfmaIndex:17  */
_ds_load_u16_d16_hi v[vgprValuA_X3_I0_D1+5], v[vgprLocalReadAddrA] offset:10624 // L -> Reg lro=4608 swapByteOffset=0 ti=64 vIdx=2 rIdx=3 oIdx=0 buffer=3 iui=0
/* localReadsVacancy: latencyLeft 4 */
_buffer_load_b128 v[vgprG2LB+4:vgprG2LB+4+3], v[vgprGlobalReadOffsetB+1], s[sgprSrdB:sgprSrdB+3], 0, offen offset:0 // G -> Reg 0_0_1_0

/* local write swap offsets a */

/* (EPS=1) local write swap internal offset -> 0 */

/* local write swap offsets b */

/* (EPS=1) local write swap internal offset -> 0 */

/* local read swap offsets a */

/* local read swap internal offset -> 32768 */

/* local read swap offsets b */

/* local read swap internal offset -> 32768 */

/* local read init pointers a */

/* localReadInitPointers */

/* local read init pointers b */

/* localReadInitPointers */
v_mfma_f32_32x32x8_f16 v[48+0:63+0], v[vgprValuA_X2_I0+0+0+0:vgprValuA_X2_I0+0+0+0+1], v[vgprValuB_X2_I0+2+0+0:vgprValuB_X2_I0+2+0+0+1], v[48:63]
/* numPrefetchIter=0 */
/* dataAtIterA=1 numReadsIterA=3 skipReadsIterA=1 readsPerIterA=12 */
/* dataAtIterB=1 numReadsIterB=3 skipReadsIterB=1 readsPerIterB=4 */


/* iter 3 */

/*  grEndMfmaIndex:6, lwStartMfmaIndex:8, lwEndMfmaIndex:17  */
/*  numMfmaForLR:5, barrierMfmaIndex:18, LocalWritePerMfma:0.500 */
/*  mfmaIndex:18  */
s_waitcnt lgkmcnt(0)                               // lgkmcnt=0 vmcnt=-13wait for local write
// Skip force waitcnt0
s_barrier //
s_waitcnt lgkmcnt(0)                               // lgkmcnt=0 vmcnt=-1wait for prior local read local write old=0, new=0 newLW=0 newLR=0
/* pack scheduling: packAIdx:2, packBIdx:2 */
v_or_b32 v[vgprValuA_X3_I0+0], v[vgprValuA_X3_I0+0], v[vgprValuA_X3_I0_D1+0] // pack two half Vgpr to one Vgpr
v_or_b32 v[vgprValuA_X3_I0+1], v[vgprValuA_X3_I0+1], v[vgprValuA_X3_I0_D1+1] // pack two half Vgpr to one Vgpr
v_perm_b32 v[vgprValuB_X3_I0+0], v[vgprValuB_X3_I0_D1+0], v[vgprValuB_X3_I0_D0+0], s[sgprPackKForV0] // select K=01 for vector=0
v_perm_b32 v[vgprValuB_X3_I0+1], v[vgprValuB_X3_I0_D3+0], v[vgprValuB_X3_I0_D2+0], s[sgprPackKForV0] // select K=23 for vector=0
v_or_b32 v[vgprValuA_X3_I0+2], v[vgprValuA_X3_I0+2], v[vgprValuA_X3_I0_D1+2] // pack two half Vgpr to one Vgpr
v_or_b32 v[vgprValuA_X3_I0+3], v[vgprValuA_X3_I0+3], v[vgprValuA_X3_I0_D1+3] // pack two half Vgpr to one Vgpr
v_mfma_f32_32x32x8_f16 v[0+0:15+0], v[vgprValuA_X3_I0+0+0+0:vgprValuA_X3_I0+0+0+0+1], v[vgprValuB_X3_I0+0+0+0:vgprValuB_X3_I0+0+0+0+1], v[0:15]
/*  mfmaIndex:19  */
_ds_load_u16 v[vgprValuA_X0_I0+0], v[vgprLocalReadAddrA] offset:32768 // L -> Reg lro=0 swapByteOffset=32768 ti=64 vIdx=0 rIdx=0 oIdx=0 buffer=0 iui=0
_ds_load_u16_d16_hi v[vgprValuA_X0_I0_D1+0], v[vgprLocalReadAddrA] offset:33152 // L -> Reg lro=0 swapByteOffset=32768 ti=64 vIdx=0 rIdx=1 oIdx=0 buffer=0 iui=0
_ds_load_u16 v[vgprValuA_X0_I0+1], v[vgprLocalReadAddrA] offset:33536 // L -> Reg lro=0 swapByteOffset=32768 ti=64 vIdx=0 rIdx=2 oIdx=0 buffer=0 iui=0
_ds_load_u16_d16_hi v[vgprValuA_X0_I0_D1+1], v[vgprLocalReadAddrA] offset:33920 // L -> Reg lro=0 swapByteOffset=32768 ti=64 vIdx=0 rIdx=3 oIdx=0 buffer=0 iui=0
/* pack scheduling: packAIdx:4, packBIdx:2 */
v_or_b32 v[vgprValuA_X3_I0+4], v[vgprValuA_X3_I0+4], v[vgprValuA_X3_I0_D1+4] // pack two half Vgpr to one Vgpr
v_or_b32 v[vgprValuA_X3_I0+5], v[vgprValuA_X3_I0+5], v[vgprValuA_X3_I0_D1+5] // pack two half Vgpr to one Vgpr
v_perm_b32 v[vgprValuB_X3_I0+2], v[vgprValuB_X3_I0_D1+0], v[vgprValuB_X3_I0_D0+0], s[sgprPackKForV1] // select K=01 for vector=1
v_perm_b32 v[vgprValuB_X3_I0+3], v[vgprValuB_X3_I0_D3+0], v[vgprValuB_X3_I0_D2+0], s[sgprPackKForV1] // select K=23 for vector=1
v_mfma_f32_32x32x8_f16 v[16+0:31+0], v[vgprValuA_X3_I0+2+0+0:vgprValuA_X3_I0+2+0+0+1], v[vgprValuB_X3_I0+0+0+0:vgprValuB_X3_I0+0+0+0+1], v[16:31]
/*  mfmaIndex:20  */
_ds_load_b32 v[vgprValuB_X0_I0_D0+0], v[vgprLocalReadAddrB] offset:32768 // L -> Reg lro=0 swapByteOffset=32768 ti=128 vIdx=0 rIdx=0 oIdx=0 buffer=0 iui=0
_ds_load_b32 v[vgprValuB_X0_I0_D1+0], v[vgprLocalReadAddrB] offset:33024 // L -> Reg lro=0 swapByteOffset=32768 ti=128 vIdx=0 rIdx=1 oIdx=0 buffer=0 iui=0
_ds_load_b32 v[vgprValuB_X0_I0_D2+0], v[vgprLocalReadAddrB] offset:33280 // L -> Reg lro=0 swapByteOffset=32768 ti=128 vIdx=0 rIdx=2 oIdx=0 buffer=0 iui=0
v_mfma_f32_32x32x8_f16 v[32+0:47+0], v[vgprValuA_X3_I0+4+0+0:vgprValuA_X3_I0+4+0+0+1], v[vgprValuB_X3_I0+0+0+0:vgprValuB_X3_I0+0+0+0+1], v[32:47]
/*  mfmaIndex:21  */
_ds_load_b32 v[vgprValuB_X0_I0_D3+0], v[vgprLocalReadAddrB] offset:33536 // L -> Reg lro=0 swapByteOffset=32768 ti=128 vIdx=0 rIdx=3 oIdx=0 buffer=0 iui=0
_ds_load_u16 v[vgprValuA_X0_I0+2], v[vgprLocalReadAddrA] offset:32896 // L -> Reg lro=0 swapByteOffset=32768 ti=64 vIdx=1 rIdx=0 oIdx=0 buffer=0 iui=0
_ds_load_u16_d16_hi v[vgprValuA_X0_I0_D1+2], v[vgprLocalReadAddrA] offset:33280 // L -> Reg lro=0 swapByteOffset=32768 ti=64 vIdx=1 rIdx=1 oIdx=0 buffer=0 iui=0
v_mfma_f32_32x32x8_f16 v[80+0:95+0], v[vgprValuA_X3_I0+4+0+0:vgprValuA_X3_I0+4+0+0+1], v[vgprValuB_X3_I0+2+0+0:vgprValuB_X3_I0+2+0+0+1], v[80:95]
/*  mfmaIndex:22  */
_ds_load_u16 v[vgprValuA_X0_I0+3], v[vgprLocalReadAddrA] offset:33664 // L -> Reg lro=0 swapByteOffset=32768 ti=64 vIdx=1 rIdx=2 oIdx=0 buffer=0 iui=0
_ds_load_u16_d16_hi v[vgprValuA_X0_I0_D1+3], v[vgprLocalReadAddrA] offset:34048 // L -> Reg lro=0 swapByteOffset=32768 ti=64 vIdx=1 rIdx=3 oIdx=0 buffer=0 iui=0
_ds_load_u16 v[vgprValuA_X0_I0+4], v[vgprLocalReadAddrA] offset:33024 // L -> Reg lro=0 swapByteOffset=32768 ti=64 vIdx=2 rIdx=0 oIdx=0 buffer=0 iui=0
v_mfma_f32_32x32x8_f16 v[64+0:79+0], v[vgprValuA_X3_I0+2+0+0:vgprValuA_X3_I0+2+0+0+1], v[vgprValuB_X3_I0+2+0+0:vgprValuB_X3_I0+2+0+0+1], v[64:79]
/*  mfmaIndex:23  */
_ds_load_u16_d16_hi v[vgprValuA_X0_I0_D1+4], v[vgprLocalReadAddrA] offset:33408 // L -> Reg lro=0 swapByteOffset=32768 ti=64 vIdx=2 rIdx=1 oIdx=0 buffer=0 iui=0
_ds_load_u16 v[vgprValuA_X0_I0+5], v[vgprLocalReadAddrA] offset:33792 // L -> Reg lro=0 swapByteOffset=32768 ti=64 vIdx=2 rIdx=2 oIdx=0 buffer=0 iui=0
_ds_load_u16_d16_hi v[vgprValuA_X0_I0_D1+5], v[vgprLocalReadAddrA] offset:34176 // L -> Reg lro=0 swapByteOffset=32768 ti=64 vIdx=2 rIdx=3 oIdx=0 buffer=0 iui=0
v_mfma_f32_32x32x8_f16 v[48+0:63+0], v[vgprValuA_X3_I0+0+0+0:vgprValuA_X3_I0+0+0+0+1], v[vgprValuB_X3_I0+2+0+0:vgprValuB_X3_I0+2+0+0+1], v[48:63]
/* numPrefetchIter=1 */
/* dataAtIterA=2 numReadsIterA=3 skipReadsIterA=1 readsPerIterA=12 */
/* dataAtIterB=2 numReadsIterB=3 skipReadsIterB=1 readsPerIterB=4 */


/******************************************/
/* Unrolled Loop - End 1/2                */
/******************************************/


/* closeLoop loopL finalLoop=0 tailLoop=0 */
s_sub_u32 s[sgprLoopCounterL], s[sgprLoopCounterL], 1 // dec counterL
s_cmp_eq_i32 s[sgprLoopCounterL], 0x2              // counterL==2
s_cbranch_scc1 LoopEndL_oddexit_3                  // exit LoopL


/******************************************/
/* Unrolled Loop 2/2 - Begin              */
/******************************************/

label_0016: // LoopCopy2 


/* Begin Each Unroll: Check VGPR.checkin for INT8 LW */


	;; [unrolled: 1-line block ×3, first 2 shown]
/* iter 0 */

/*  grEndMfmaIndex:6, lwStartMfmaIndex:8, lwEndMfmaIndex:17  */
/*  numMfmaForLR:5, barrierMfmaIndex:18, LocalWritePerMfma:0.500 */
/*  mfmaIndex:0  */
s_waitcnt lgkmcnt(0)                               // lgkmcnt=0 vmcnt=-1wait for prior local read local write old=0, new=0 newLW=0 newLR=0
/* pack scheduling: packAIdx:2, packBIdx:2 */
v_or_b32 v[vgprValuA_X0_I0+0], v[vgprValuA_X0_I0+0], v[vgprValuA_X0_I0_D1+0] // pack two half Vgpr to one Vgpr
v_or_b32 v[vgprValuA_X0_I0+1], v[vgprValuA_X0_I0+1], v[vgprValuA_X0_I0_D1+1] // pack two half Vgpr to one Vgpr
v_perm_b32 v[vgprValuB_X0_I0+0], v[vgprValuB_X0_I0_D1+0], v[vgprValuB_X0_I0_D0+0], s[sgprPackKForV0] // select K=01 for vector=0
v_perm_b32 v[vgprValuB_X0_I0+1], v[vgprValuB_X0_I0_D3+0], v[vgprValuB_X0_I0_D2+0], s[sgprPackKForV0] // select K=23 for vector=0
v_or_b32 v[vgprValuA_X0_I0+2], v[vgprValuA_X0_I0+2], v[vgprValuA_X0_I0_D1+2] // pack two half Vgpr to one Vgpr
v_or_b32 v[vgprValuA_X0_I0+3], v[vgprValuA_X0_I0+3], v[vgprValuA_X0_I0_D1+3] // pack two half Vgpr to one Vgpr
v_mfma_f32_32x32x8_f16 v[0+0:15+0], v[vgprValuA_X0_I0+0+0+0:vgprValuA_X0_I0+0+0+0+1], v[vgprValuB_X0_I0+0+0+0:vgprValuB_X0_I0+0+0+0+1], v[0:15]
/*  mfmaIndex:1  */
_ds_load_u16 v[vgprValuA_X1_I0+0], v[vgprLocalReadAddrA] offset:35840 // L -> Reg lro=1536 swapByteOffset=32768 ti=64 vIdx=0 rIdx=0 oIdx=0 buffer=1 iui=0
_ds_load_u16_d16_hi v[vgprValuA_X1_I0_D1+0], v[vgprLocalReadAddrA] offset:36224 // L -> Reg lro=1536 swapByteOffset=32768 ti=64 vIdx=0 rIdx=1 oIdx=0 buffer=1 iui=0
_ds_load_u16 v[vgprValuA_X1_I0+1], v[vgprLocalReadAddrA] offset:36608 // L -> Reg lro=1536 swapByteOffset=32768 ti=64 vIdx=0 rIdx=2 oIdx=0 buffer=1 iui=0
_ds_load_u16_d16_hi v[vgprValuA_X1_I0_D1+1], v[vgprLocalReadAddrA] offset:36992 // L -> Reg lro=1536 swapByteOffset=32768 ti=64 vIdx=0 rIdx=3 oIdx=0 buffer=1 iui=0

/* global read inc A loopL */
s_cmp_eq_u32 s[sgprLoopCounterL], s[sgprStaggerUIter] // Is this the wrapIter?
s_cselect_b32 s62, s[sgprWrapUA+0], s[sgprGlobalReadIncsA+0] // incLower <- ?
s_cselect_b32 s63, s[sgprWrapUA+1], 0              // incUpper <- ?
/* pack scheduling: packAIdx:4, packBIdx:2 */
v_or_b32 v[vgprValuA_X0_I0+4], v[vgprValuA_X0_I0+4], v[vgprValuA_X0_I0_D1+4] // pack two half Vgpr to one Vgpr
v_or_b32 v[vgprValuA_X0_I0+5], v[vgprValuA_X0_I0+5], v[vgprValuA_X0_I0_D1+5] // pack two half Vgpr to one Vgpr
v_perm_b32 v[vgprValuB_X0_I0+2], v[vgprValuB_X0_I0_D1+0], v[vgprValuB_X0_I0_D0+0], s[sgprPackKForV1] // select K=01 for vector=1
v_perm_b32 v[vgprValuB_X0_I0+3], v[vgprValuB_X0_I0_D3+0], v[vgprValuB_X0_I0_D2+0], s[sgprPackKForV1] // select K=23 for vector=1
v_mfma_f32_32x32x8_f16 v[16+0:31+0], v[vgprValuA_X0_I0+2+0+0:vgprValuA_X0_I0+2+0+0+1], v[vgprValuB_X0_I0+0+0+0:vgprValuB_X0_I0+0+0+0+1], v[16:31]
/*  mfmaIndex:2  */
_ds_load_b32 v[vgprValuB_X1_I0_D0+0], v[vgprLocalReadAddrB] offset:34816 // L -> Reg lro=1024 swapByteOffset=32768 ti=128 vIdx=0 rIdx=0 oIdx=0 buffer=1 iui=0
_ds_load_b32 v[vgprValuB_X1_I0_D1+0], v[vgprLocalReadAddrB] offset:35072 // L -> Reg lro=1024 swapByteOffset=32768 ti=128 vIdx=0 rIdx=1 oIdx=0 buffer=1 iui=0
_ds_load_b32 v[vgprValuB_X1_I0_D2+0], v[vgprLocalReadAddrB] offset:35328 // L -> Reg lro=1024 swapByteOffset=32768 ti=128 vIdx=0 rIdx=2 oIdx=0 buffer=1 iui=0
s_add_u32 s[sgprSrdA+0], s[sgprSrdA+0], s62        // gra SRD += inc(lower)
s_addc_u32  s[sgprSrdA+1], s[sgprSrdA+1], s63      // gra SRD += inc(upper)
s_sub_u32 s[sgprShadowLimitA+0], s[sgprShadowLimitA+0], s62 // limit -= inc)
v_mfma_f32_32x32x8_f16 v[32+0:47+0], v[vgprValuA_X0_I0+4+0+0:vgprValuA_X0_I0+4+0+0+1], v[vgprValuB_X0_I0+0+0+0:vgprValuB_X0_I0+0+0+0+1], v[32:47]
/*  mfmaIndex:3  */
_ds_load_b32 v[vgprValuB_X1_I0_D3+0], v[vgprLocalReadAddrB] offset:35584 // L -> Reg lro=1024 swapByteOffset=32768 ti=128 vIdx=0 rIdx=3 oIdx=0 buffer=1 iui=0
_ds_load_u16 v[vgprValuA_X1_I0+2], v[vgprLocalReadAddrA] offset:35968 // L -> Reg lro=1536 swapByteOffset=32768 ti=64 vIdx=1 rIdx=0 oIdx=0 buffer=1 iui=0
_ds_load_u16_d16_hi v[vgprValuA_X1_I0_D1+2], v[vgprLocalReadAddrA] offset:36352 // L -> Reg lro=1536 swapByteOffset=32768 ti=64 vIdx=1 rIdx=1 oIdx=0 buffer=1 iui=0
s_subb_u32 s[sgprShadowLimitA+1], s[sgprShadowLimitA+1], s63 // limit -= inc)
s_cmp_eq_u32 s[sgprShadowLimitA+1], 0              // are we within 2^32?
s_cselect_b32 s[sgprSrdA+2], s[sgprShadowLimitA+0], BufferLimitA // Move shadow to real if we are within 2^32
v_mfma_f32_32x32x8_f16 v[80+0:95+0], v[vgprValuA_X0_I0+4+0+0:vgprValuA_X0_I0+4+0+0+1], v[vgprValuB_X0_I0+2+0+0:vgprValuB_X0_I0+2+0+0+1], v[80:95]
/*  mfmaIndex:4  */
_ds_load_u16 v[vgprValuA_X1_I0+3], v[vgprLocalReadAddrA] offset:36736 // L -> Reg lro=1536 swapByteOffset=32768 ti=64 vIdx=1 rIdx=2 oIdx=0 buffer=1 iui=0
_ds_load_u16_d16_hi v[vgprValuA_X1_I0_D1+3], v[vgprLocalReadAddrA] offset:37120 // L -> Reg lro=1536 swapByteOffset=32768 ti=64 vIdx=1 rIdx=3 oIdx=0 buffer=1 iui=0
_ds_load_u16 v[vgprValuA_X1_I0+4], v[vgprLocalReadAddrA] offset:36096 // L -> Reg lro=1536 swapByteOffset=32768 ti=64 vIdx=2 rIdx=0 oIdx=0 buffer=1 iui=0

/* global read inc B loopL */
s_cmp_eq_u32 s[sgprLoopCounterL], s[sgprStaggerUIter] // Is this the wrapIter?
s_cselect_b32 s62, s[sgprWrapUB+0], s[sgprGlobalReadIncsB+0] // incLower <- ?
s_cselect_b32 s63, s[sgprWrapUB+1], 0              // incUpper <- ?
v_mfma_f32_32x32x8_f16 v[64+0:79+0], v[vgprValuA_X0_I0+2+0+0:vgprValuA_X0_I0+2+0+0+1], v[vgprValuB_X0_I0+2+0+0:vgprValuB_X0_I0+2+0+0+1], v[64:79]
/*  mfmaIndex:5  */
_ds_load_u16_d16_hi v[vgprValuA_X1_I0_D1+4], v[vgprLocalReadAddrA] offset:36480 // L -> Reg lro=1536 swapByteOffset=32768 ti=64 vIdx=2 rIdx=1 oIdx=0 buffer=1 iui=0
_ds_load_u16 v[vgprValuA_X1_I0+5], v[vgprLocalReadAddrA] offset:36864 // L -> Reg lro=1536 swapByteOffset=32768 ti=64 vIdx=2 rIdx=2 oIdx=0 buffer=1 iui=0
_ds_load_u16_d16_hi v[vgprValuA_X1_I0_D1+5], v[vgprLocalReadAddrA] offset:37248 // L -> Reg lro=1536 swapByteOffset=32768 ti=64 vIdx=2 rIdx=3 oIdx=0 buffer=1 iui=0
s_add_u32 s[sgprSrdB+0], s[sgprSrdB+0], s62        // gra SRD += inc(lower)
s_addc_u32  s[sgprSrdB+1], s[sgprSrdB+1], s63      // gra SRD += inc(upper)
s_sub_u32 s[sgprShadowLimitB+0], s[sgprShadowLimitB+0], s62 // limit -= inc)
v_mfma_f32_32x32x8_f16 v[48+0:63+0], v[vgprValuA_X0_I0+0+0+0:vgprValuA_X0_I0+0+0+0+1], v[vgprValuB_X0_I0+2+0+0:vgprValuB_X0_I0+2+0+0+1], v[48:63]
/* numPrefetchIter=0 */
/* dataAtIterA=-1 numReadsIterA=1 skipReadsIterA=1 readsPerIterA=12 */
/* dataAtIterB=-1 numReadsIterB=1 skipReadsIterB=1 readsPerIterB=4 */


/* iter 1 */

/*  grEndMfmaIndex:6, lwStartMfmaIndex:8, lwEndMfmaIndex:17  */
/*  numMfmaForLR:5, barrierMfmaIndex:18, LocalWritePerMfma:0.500 */
/*  mfmaIndex:6  */
_ds_load_u16 v[vgprValuA_X2_I0+0], v[vgprLocalReadAddrA] offset:38912 // L -> Reg lro=3072 swapByteOffset=32768 ti=64 vIdx=0 rIdx=0 oIdx=0 buffer=2 iui=0
_ds_load_u16_d16_hi v[vgprValuA_X2_I0_D1+0], v[vgprLocalReadAddrA] offset:39296 // L -> Reg lro=3072 swapByteOffset=32768 ti=64 vIdx=0 rIdx=1 oIdx=0 buffer=2 iui=0
_ds_load_u16 v[vgprValuA_X2_I0+1], v[vgprLocalReadAddrA] offset:39680 // L -> Reg lro=3072 swapByteOffset=32768 ti=64 vIdx=0 rIdx=2 oIdx=0 buffer=2 iui=0
s_subb_u32 s[sgprShadowLimitB+1], s[sgprShadowLimitB+1], s63 // limit -= inc)
s_cmp_eq_u32 s[sgprShadowLimitB+1], 0              // are we within 2^32?
s_cselect_b32 s[sgprSrdB+2], s[sgprShadowLimitB+0], BufferLimitB // Move shadow to real if we are within 2^32
s_waitcnt lgkmcnt(3)                               // lgkmcnt=0 vmcnt=-1wait for prior local read local write old=0, new=3 newLW=0 newLR=3
/* pack scheduling: packAIdx:2, packBIdx:2 */
v_or_b32 v[vgprValuA_X1_I0+0], v[vgprValuA_X1_I0+0], v[vgprValuA_X1_I0_D1+0] // pack two half Vgpr to one Vgpr
v_or_b32 v[vgprValuA_X1_I0+1], v[vgprValuA_X1_I0+1], v[vgprValuA_X1_I0_D1+1] // pack two half Vgpr to one Vgpr
v_perm_b32 v[vgprValuB_X1_I0+0], v[vgprValuB_X1_I0_D1+0], v[vgprValuB_X1_I0_D0+0], s[sgprPackKForV0] // select K=01 for vector=0
v_perm_b32 v[vgprValuB_X1_I0+1], v[vgprValuB_X1_I0_D3+0], v[vgprValuB_X1_I0_D2+0], s[sgprPackKForV0] // select K=23 for vector=0
v_or_b32 v[vgprValuA_X1_I0+2], v[vgprValuA_X1_I0+2], v[vgprValuA_X1_I0_D1+2] // pack two half Vgpr to one Vgpr
v_or_b32 v[vgprValuA_X1_I0+3], v[vgprValuA_X1_I0+3], v[vgprValuA_X1_I0_D1+3] // pack two half Vgpr to one Vgpr
v_mfma_f32_32x32x8_f16 v[0+0:15+0], v[vgprValuA_X1_I0+0+0+0:vgprValuA_X1_I0+0+0+0+1], v[vgprValuB_X1_I0+0+0+0:vgprValuB_X1_I0+0+0+0+1], v[0:15]
/*  mfmaIndex:7  */
_ds_load_u16_d16_hi v[vgprValuA_X2_I0_D1+1], v[vgprLocalReadAddrA] offset:40064 // L -> Reg lro=3072 swapByteOffset=32768 ti=64 vIdx=0 rIdx=3 oIdx=0 buffer=2 iui=0
_ds_load_b32 v[vgprValuB_X2_I0_D0+0], v[vgprLocalReadAddrB] offset:36864 // L -> Reg lro=2048 swapByteOffset=32768 ti=128 vIdx=0 rIdx=0 oIdx=0 buffer=2 iui=0
_ds_load_b32 v[vgprValuB_X2_I0_D1+0], v[vgprLocalReadAddrB] offset:37120 // L -> Reg lro=2048 swapByteOffset=32768 ti=128 vIdx=0 rIdx=1 oIdx=0 buffer=2 iui=0
/* pack scheduling: packAIdx:4, packBIdx:2 */
v_or_b32 v[vgprValuA_X1_I0+4], v[vgprValuA_X1_I0+4], v[vgprValuA_X1_I0_D1+4] // pack two half Vgpr to one Vgpr
v_or_b32 v[vgprValuA_X1_I0+5], v[vgprValuA_X1_I0+5], v[vgprValuA_X1_I0_D1+5] // pack two half Vgpr to one Vgpr
v_perm_b32 v[vgprValuB_X1_I0+2], v[vgprValuB_X1_I0_D1+0], v[vgprValuB_X1_I0_D0+0], s[sgprPackKForV1] // select K=01 for vector=1
v_perm_b32 v[vgprValuB_X1_I0+3], v[vgprValuB_X1_I0_D3+0], v[vgprValuB_X1_I0_D2+0], s[sgprPackKForV1] // select K=23 for vector=1
v_mfma_f32_32x32x8_f16 v[16+0:31+0], v[vgprValuA_X1_I0+2+0+0:vgprValuA_X1_I0+2+0+0+1], v[vgprValuB_X1_I0+0+0+0:vgprValuB_X1_I0+0+0+0+1], v[16:31]
/*  mfmaIndex:8  */
_ds_load_b32 v[vgprValuB_X2_I0_D2+0], v[vgprLocalReadAddrB] offset:37376 // L -> Reg lro=2048 swapByteOffset=32768 ti=128 vIdx=0 rIdx=2 oIdx=0 buffer=2 iui=0
_ds_load_b32 v[vgprValuB_X2_I0_D3+0], v[vgprLocalReadAddrB] offset:37632 // L -> Reg lro=2048 swapByteOffset=32768 ti=128 vIdx=0 rIdx=3 oIdx=0 buffer=2 iui=0
_ds_load_u16 v[vgprValuA_X2_I0+2], v[vgprLocalReadAddrA] offset:39040 // L -> Reg lro=3072 swapByteOffset=32768 ti=64 vIdx=1 rIdx=0 oIdx=0 buffer=2 iui=0
/* sched write - iter 1 writesPerItem=1 */
s_waitcnt vmcnt(0)                                 // lgkmcnt=-1 vmcnt=0wait for global read before writing to local
_ds_store_b128 v[vgprLocalWriteAddrA], v[vgprG2LA+0:vgprG2LA+0+3] offset:0 // lwoA_0_0_0_0 = (0*LSCA) + (0*LSPA)(*MT0I+PAD) = 0
v_mfma_f32_32x32x8_f16 v[32+0:47+0], v[vgprValuA_X1_I0+4+0+0:vgprValuA_X1_I0+4+0+0+1], v[vgprValuB_X1_I0+0+0+0:vgprValuB_X1_I0+0+0+0+1], v[32:47]
/*  mfmaIndex:9  */
_ds_load_u16_d16_hi v[vgprValuA_X2_I0_D1+2], v[vgprLocalReadAddrA] offset:39424 // L -> Reg lro=3072 swapByteOffset=32768 ti=64 vIdx=1 rIdx=1 oIdx=0 buffer=2 iui=0
_ds_load_u16 v[vgprValuA_X2_I0+3], v[vgprLocalReadAddrA] offset:39808 // L -> Reg lro=3072 swapByteOffset=32768 ti=64 vIdx=1 rIdx=2 oIdx=0 buffer=2 iui=0
_ds_load_u16_d16_hi v[vgprValuA_X2_I0_D1+3], v[vgprLocalReadAddrA] offset:40192 // L -> Reg lro=3072 swapByteOffset=32768 ti=64 vIdx=1 rIdx=3 oIdx=0 buffer=2 iui=0
_buffer_load_b128 v[vgprG2LA+0:vgprG2LA+0+3], v[vgprGlobalReadOffsetA+0], s[sgprSrdA:sgprSrdA+3], 0, offen offset:0 // G -> Reg 0_0_0_0
v_mfma_f32_32x32x8_f16 v[80+0:95+0], v[vgprValuA_X1_I0+4+0+0:vgprValuA_X1_I0+4+0+0+1], v[vgprValuB_X1_I0+2+0+0:vgprValuB_X1_I0+2+0+0+1], v[80:95]
/*  mfmaIndex:10  */
_ds_load_u16 v[vgprValuA_X2_I0+4], v[vgprLocalReadAddrA] offset:39168 // L -> Reg lro=3072 swapByteOffset=32768 ti=64 vIdx=2 rIdx=0 oIdx=0 buffer=2 iui=0
_ds_load_u16_d16_hi v[vgprValuA_X2_I0_D1+4], v[vgprLocalReadAddrA] offset:39552 // L -> Reg lro=3072 swapByteOffset=32768 ti=64 vIdx=2 rIdx=1 oIdx=0 buffer=2 iui=0
/* sched write - iter 1 writesPerItem=1 */
s_waitcnt vmcnt(0)                                 // lgkmcnt=-1 vmcnt=0wait for global read before writing to local
_ds_store_b128 v[vgprLocalWriteAddrA], v[vgprG2LA+4:vgprG2LA+4+3] offset:128 // lwoA_1_0_0_0 = (1*LSCA) + (0*LSPA)(*MT0I+PAD) = 128
v_mfma_f32_32x32x8_f16 v[64+0:79+0], v[vgprValuA_X1_I0+2+0+0:vgprValuA_X1_I0+2+0+0+1], v[vgprValuB_X1_I0+2+0+0:vgprValuB_X1_I0+2+0+0+1], v[64:79]
/*  mfmaIndex:11  */
_ds_load_u16 v[vgprValuA_X2_I0+5], v[vgprLocalReadAddrA] offset:39936 // L -> Reg lro=3072 swapByteOffset=32768 ti=64 vIdx=2 rIdx=2 oIdx=0 buffer=2 iui=0
_ds_load_u16_d16_hi v[vgprValuA_X2_I0_D1+5], v[vgprLocalReadAddrA] offset:40320 // L -> Reg lro=3072 swapByteOffset=32768 ti=64 vIdx=2 rIdx=3 oIdx=0 buffer=2 iui=0
/* localReadsVacancy: latencyLeft 2 */
_ds_load_u16 v[vgprValuA_X3_I0+0], v[vgprLocalReadAddrA] offset:41984 // L -> Reg lro=4608 swapByteOffset=32768 ti=64 vIdx=0 rIdx=0 oIdx=0 buffer=3 iui=0
_buffer_load_b128 v[vgprG2LA+4:vgprG2LA+4+3], v[vgprGlobalReadOffsetA+1], s[sgprSrdA:sgprSrdA+3], 0, offen offset:0 // G -> Reg 1_0_0_0
v_mfma_f32_32x32x8_f16 v[48+0:63+0], v[vgprValuA_X1_I0+0+0+0:vgprValuA_X1_I0+0+0+0+1], v[vgprValuB_X1_I0+2+0+0:vgprValuB_X1_I0+2+0+0+1], v[48:63]
/* numPrefetchIter=0 */
/* dataAtIterA=0 numReadsIterA=2 skipReadsIterA=1 readsPerIterA=12 */
/* dataAtIterB=0 numReadsIterB=2 skipReadsIterB=1 readsPerIterB=4 */


/* iter 2 (reset local read pointers iteration)  (swap and reset local write pointers iteration)  (swap local read pointers iteration)  */

/*  grEndMfmaIndex:6, lwStartMfmaIndex:8, lwEndMfmaIndex:17  */
/*  numMfmaForLR:5, barrierMfmaIndex:18, LocalWritePerMfma:0.500 */
/*  mfmaIndex:12  */
_ds_load_u16_d16_hi v[vgprValuA_X3_I0_D1+0], v[vgprLocalReadAddrA] offset:42368 // L -> Reg lro=4608 swapByteOffset=32768 ti=64 vIdx=0 rIdx=1 oIdx=0 buffer=3 iui=0
_ds_load_u16 v[vgprValuA_X3_I0+1], v[vgprLocalReadAddrA] offset:42752 // L -> Reg lro=4608 swapByteOffset=32768 ti=64 vIdx=0 rIdx=2 oIdx=0 buffer=3 iui=0
_ds_load_u16_d16_hi v[vgprValuA_X3_I0_D1+1], v[vgprLocalReadAddrA] offset:43136 // L -> Reg lro=4608 swapByteOffset=32768 ti=64 vIdx=0 rIdx=3 oIdx=0 buffer=3 iui=0
/* sched write - iter 2 writesPerItem=1 */
s_waitcnt vmcnt(0)                                 // lgkmcnt=-1 vmcnt=0wait for global read before writing to local
_ds_store_b128 v[vgprLocalWriteAddrA], v[vgprG2LA+8:vgprG2LA+8+3] offset:256 // lwoA_2_0_0_0 = (2*LSCA) + (0*LSPA)(*MT0I+PAD) = 256
s_waitcnt lgkmcnt(5)                               // lgkmcnt=0 vmcnt=-1wait for prior local read local write old=1, new=5 newLW=1 newLR=3
/* pack scheduling: packAIdx:2, packBIdx:2 */
v_or_b32 v[vgprValuA_X2_I0+0], v[vgprValuA_X2_I0+0], v[vgprValuA_X2_I0_D1+0] // pack two half Vgpr to one Vgpr
v_or_b32 v[vgprValuA_X2_I0+1], v[vgprValuA_X2_I0+1], v[vgprValuA_X2_I0_D1+1] // pack two half Vgpr to one Vgpr
v_perm_b32 v[vgprValuB_X2_I0+0], v[vgprValuB_X2_I0_D1+0], v[vgprValuB_X2_I0_D0+0], s[sgprPackKForV0] // select K=01 for vector=0
v_perm_b32 v[vgprValuB_X2_I0+1], v[vgprValuB_X2_I0_D3+0], v[vgprValuB_X2_I0_D2+0], s[sgprPackKForV0] // select K=23 for vector=0
v_or_b32 v[vgprValuA_X2_I0+2], v[vgprValuA_X2_I0+2], v[vgprValuA_X2_I0_D1+2] // pack two half Vgpr to one Vgpr
v_or_b32 v[vgprValuA_X2_I0+3], v[vgprValuA_X2_I0+3], v[vgprValuA_X2_I0_D1+3] // pack two half Vgpr to one Vgpr
v_mfma_f32_32x32x8_f16 v[0+0:15+0], v[vgprValuA_X2_I0+0+0+0:vgprValuA_X2_I0+0+0+0+1], v[vgprValuB_X2_I0+0+0+0:vgprValuB_X2_I0+0+0+0+1], v[0:15]
/*  mfmaIndex:13  */
_ds_load_b32 v[vgprValuB_X3_I0_D0+0], v[vgprLocalReadAddrB] offset:38912 // L -> Reg lro=3072 swapByteOffset=32768 ti=128 vIdx=0 rIdx=0 oIdx=0 buffer=3 iui=0
_ds_load_b32 v[vgprValuB_X3_I0_D1+0], v[vgprLocalReadAddrB] offset:39168 // L -> Reg lro=3072 swapByteOffset=32768 ti=128 vIdx=0 rIdx=1 oIdx=0 buffer=3 iui=0
_ds_load_b32 v[vgprValuB_X3_I0_D2+0], v[vgprLocalReadAddrB] offset:39424 // L -> Reg lro=3072 swapByteOffset=32768 ti=128 vIdx=0 rIdx=2 oIdx=0 buffer=3 iui=0
_buffer_load_b128 v[vgprG2LA+8:vgprG2LA+8+3], v[vgprGlobalReadOffsetA+2], s[sgprSrdA:sgprSrdA+3], 0, offen offset:0 // G -> Reg 2_0_0_0
/* pack scheduling: packAIdx:4, packBIdx:2 */
v_or_b32 v[vgprValuA_X2_I0+4], v[vgprValuA_X2_I0+4], v[vgprValuA_X2_I0_D1+4] // pack two half Vgpr to one Vgpr
v_or_b32 v[vgprValuA_X2_I0+5], v[vgprValuA_X2_I0+5], v[vgprValuA_X2_I0_D1+5] // pack two half Vgpr to one Vgpr
v_perm_b32 v[vgprValuB_X2_I0+2], v[vgprValuB_X2_I0_D1+0], v[vgprValuB_X2_I0_D0+0], s[sgprPackKForV1] // select K=01 for vector=1
v_perm_b32 v[vgprValuB_X2_I0+3], v[vgprValuB_X2_I0_D3+0], v[vgprValuB_X2_I0_D2+0], s[sgprPackKForV1] // select K=23 for vector=1
v_mfma_f32_32x32x8_f16 v[16+0:31+0], v[vgprValuA_X2_I0+2+0+0:vgprValuA_X2_I0+2+0+0+1], v[vgprValuB_X2_I0+0+0+0:vgprValuB_X2_I0+0+0+0+1], v[16:31]
/*  mfmaIndex:14  */
_ds_load_b32 v[vgprValuB_X3_I0_D3+0], v[vgprLocalReadAddrB] offset:39680 // L -> Reg lro=3072 swapByteOffset=32768 ti=128 vIdx=0 rIdx=3 oIdx=0 buffer=3 iui=0
_ds_load_u16 v[vgprValuA_X3_I0+2], v[vgprLocalReadAddrA] offset:42112 // L -> Reg lro=4608 swapByteOffset=32768 ti=64 vIdx=1 rIdx=0 oIdx=0 buffer=3 iui=0
_ds_load_u16_d16_hi v[vgprValuA_X3_I0_D1+2], v[vgprLocalReadAddrA] offset:42496 // L -> Reg lro=4608 swapByteOffset=32768 ti=64 vIdx=1 rIdx=1 oIdx=0 buffer=3 iui=0
/* sched write - iter 2 writesPerItem=1 */
s_waitcnt vmcnt(0)                                 // lgkmcnt=-1 vmcnt=0wait for global read before writing to local
_ds_store_b128 v[vgprLocalWriteAddrB], v[vgprG2LB+0:vgprG2LB+0+3] offset:0 // lwoB_0_0_0_0 = (0*LSCB) + (0*LSPB)(*MT1J+PAD) = 0
v_mfma_f32_32x32x8_f16 v[32+0:47+0], v[vgprValuA_X2_I0+4+0+0:vgprValuA_X2_I0+4+0+0+1], v[vgprValuB_X2_I0+0+0+0:vgprValuB_X2_I0+0+0+0+1], v[32:47]
/*  mfmaIndex:15  */
_ds_load_u16 v[vgprValuA_X3_I0+3], v[vgprLocalReadAddrA] offset:42880 // L -> Reg lro=4608 swapByteOffset=32768 ti=64 vIdx=1 rIdx=2 oIdx=0 buffer=3 iui=0
_ds_load_u16_d16_hi v[vgprValuA_X3_I0_D1+3], v[vgprLocalReadAddrA] offset:43264 // L -> Reg lro=4608 swapByteOffset=32768 ti=64 vIdx=1 rIdx=3 oIdx=0 buffer=3 iui=0
_ds_load_u16 v[vgprValuA_X3_I0+4], v[vgprLocalReadAddrA] offset:42240 // L -> Reg lro=4608 swapByteOffset=32768 ti=64 vIdx=2 rIdx=0 oIdx=0 buffer=3 iui=0
_buffer_load_b128 v[vgprG2LB+0:vgprG2LB+0+3], v[vgprGlobalReadOffsetB+0], s[sgprSrdB:sgprSrdB+3], 0, offen offset:0 // G -> Reg 0_0_0_0
v_mfma_f32_32x32x8_f16 v[80+0:95+0], v[vgprValuA_X2_I0+4+0+0:vgprValuA_X2_I0+4+0+0+1], v[vgprValuB_X2_I0+2+0+0:vgprValuB_X2_I0+2+0+0+1], v[80:95]
/*  mfmaIndex:16  */
_ds_load_u16_d16_hi v[vgprValuA_X3_I0_D1+4], v[vgprLocalReadAddrA] offset:42624 // L -> Reg lro=4608 swapByteOffset=32768 ti=64 vIdx=2 rIdx=1 oIdx=0 buffer=3 iui=0
_ds_load_u16 v[vgprValuA_X3_I0+5], v[vgprLocalReadAddrA] offset:43008 // L -> Reg lro=4608 swapByteOffset=32768 ti=64 vIdx=2 rIdx=2 oIdx=0 buffer=3 iui=0
/* sched write - iter 2 writesPerItem=1 */
s_waitcnt vmcnt(0)                                 // lgkmcnt=-1 vmcnt=0wait for global read before writing to local
_ds_store_b128 v[vgprLocalWriteAddrB], v[vgprG2LB+4:vgprG2LB+4+3] offset:4096 // lwoB_0_0_1_0 = (0*LSCB) + (1*LSPB)(*MT1J+PAD) = 4096
v_mfma_f32_32x32x8_f16 v[64+0:79+0], v[vgprValuA_X2_I0+2+0+0:vgprValuA_X2_I0+2+0+0+1], v[vgprValuB_X2_I0+2+0+0:vgprValuB_X2_I0+2+0+0+1], v[64:79]
/*  mfmaIndex:17  */
_ds_load_u16_d16_hi v[vgprValuA_X3_I0_D1+5], v[vgprLocalReadAddrA] offset:43392 // L -> Reg lro=4608 swapByteOffset=32768 ti=64 vIdx=2 rIdx=3 oIdx=0 buffer=3 iui=0
/* localReadsVacancy: latencyLeft 4 */
_buffer_load_b128 v[vgprG2LB+4:vgprG2LB+4+3], v[vgprGlobalReadOffsetB+1], s[sgprSrdB:sgprSrdB+3], 0, offen offset:0 // G -> Reg 0_0_1_0

/* local write swap offsets a */

/* (EPS=1) local write swap internal offset -> 32768 */

/* local write swap offsets b */

/* (EPS=1) local write swap internal offset -> 32768 */

/* local read swap offsets a */

/* local read swap internal offset -> 0 */

/* local read swap offsets b */

/* local read swap internal offset -> 0 */

/* local read init pointers a */

/* localReadInitPointers */

/* local read init pointers b */

/* localReadInitPointers */
v_mfma_f32_32x32x8_f16 v[48+0:63+0], v[vgprValuA_X2_I0+0+0+0:vgprValuA_X2_I0+0+0+0+1], v[vgprValuB_X2_I0+2+0+0:vgprValuB_X2_I0+2+0+0+1], v[48:63]
/* numPrefetchIter=0 */
/* dataAtIterA=1 numReadsIterA=3 skipReadsIterA=1 readsPerIterA=12 */
/* dataAtIterB=1 numReadsIterB=3 skipReadsIterB=1 readsPerIterB=4 */


/* iter 3 */

/*  grEndMfmaIndex:6, lwStartMfmaIndex:8, lwEndMfmaIndex:17  */
/*  numMfmaForLR:5, barrierMfmaIndex:18, LocalWritePerMfma:0.500 */
/*  mfmaIndex:18  */
s_waitcnt lgkmcnt(0)                               // lgkmcnt=0 vmcnt=-13wait for local write
// Skip force waitcnt0
s_barrier //
s_waitcnt lgkmcnt(0)                               // lgkmcnt=0 vmcnt=-1wait for prior local read local write old=0, new=0 newLW=0 newLR=0
/* pack scheduling: packAIdx:2, packBIdx:2 */
v_or_b32 v[vgprValuA_X3_I0+0], v[vgprValuA_X3_I0+0], v[vgprValuA_X3_I0_D1+0] // pack two half Vgpr to one Vgpr
v_or_b32 v[vgprValuA_X3_I0+1], v[vgprValuA_X3_I0+1], v[vgprValuA_X3_I0_D1+1] // pack two half Vgpr to one Vgpr
v_perm_b32 v[vgprValuB_X3_I0+0], v[vgprValuB_X3_I0_D1+0], v[vgprValuB_X3_I0_D0+0], s[sgprPackKForV0] // select K=01 for vector=0
v_perm_b32 v[vgprValuB_X3_I0+1], v[vgprValuB_X3_I0_D3+0], v[vgprValuB_X3_I0_D2+0], s[sgprPackKForV0] // select K=23 for vector=0
v_or_b32 v[vgprValuA_X3_I0+2], v[vgprValuA_X3_I0+2], v[vgprValuA_X3_I0_D1+2] // pack two half Vgpr to one Vgpr
v_or_b32 v[vgprValuA_X3_I0+3], v[vgprValuA_X3_I0+3], v[vgprValuA_X3_I0_D1+3] // pack two half Vgpr to one Vgpr
v_mfma_f32_32x32x8_f16 v[0+0:15+0], v[vgprValuA_X3_I0+0+0+0:vgprValuA_X3_I0+0+0+0+1], v[vgprValuB_X3_I0+0+0+0:vgprValuB_X3_I0+0+0+0+1], v[0:15]
/*  mfmaIndex:19  */
_ds_load_u16 v[vgprValuA_X0_I0+0], v[vgprLocalReadAddrA] offset:0 // L -> Reg lro=0 swapByteOffset=0 ti=64 vIdx=0 rIdx=0 oIdx=0 buffer=0 iui=0
_ds_load_u16_d16_hi v[vgprValuA_X0_I0_D1+0], v[vgprLocalReadAddrA] offset:384 // L -> Reg lro=0 swapByteOffset=0 ti=64 vIdx=0 rIdx=1 oIdx=0 buffer=0 iui=0
_ds_load_u16 v[vgprValuA_X0_I0+1], v[vgprLocalReadAddrA] offset:768 // L -> Reg lro=0 swapByteOffset=0 ti=64 vIdx=0 rIdx=2 oIdx=0 buffer=0 iui=0
_ds_load_u16_d16_hi v[vgprValuA_X0_I0_D1+1], v[vgprLocalReadAddrA] offset:1152 // L -> Reg lro=0 swapByteOffset=0 ti=64 vIdx=0 rIdx=3 oIdx=0 buffer=0 iui=0
/* pack scheduling: packAIdx:4, packBIdx:2 */
v_or_b32 v[vgprValuA_X3_I0+4], v[vgprValuA_X3_I0+4], v[vgprValuA_X3_I0_D1+4] // pack two half Vgpr to one Vgpr
v_or_b32 v[vgprValuA_X3_I0+5], v[vgprValuA_X3_I0+5], v[vgprValuA_X3_I0_D1+5] // pack two half Vgpr to one Vgpr
v_perm_b32 v[vgprValuB_X3_I0+2], v[vgprValuB_X3_I0_D1+0], v[vgprValuB_X3_I0_D0+0], s[sgprPackKForV1] // select K=01 for vector=1
v_perm_b32 v[vgprValuB_X3_I0+3], v[vgprValuB_X3_I0_D3+0], v[vgprValuB_X3_I0_D2+0], s[sgprPackKForV1] // select K=23 for vector=1
v_mfma_f32_32x32x8_f16 v[16+0:31+0], v[vgprValuA_X3_I0+2+0+0:vgprValuA_X3_I0+2+0+0+1], v[vgprValuB_X3_I0+0+0+0:vgprValuB_X3_I0+0+0+0+1], v[16:31]
/*  mfmaIndex:20  */
_ds_load_b32 v[vgprValuB_X0_I0_D0+0], v[vgprLocalReadAddrB] offset:0 // L -> Reg lro=0 swapByteOffset=0 ti=128 vIdx=0 rIdx=0 oIdx=0 buffer=0 iui=0
_ds_load_b32 v[vgprValuB_X0_I0_D1+0], v[vgprLocalReadAddrB] offset:256 // L -> Reg lro=0 swapByteOffset=0 ti=128 vIdx=0 rIdx=1 oIdx=0 buffer=0 iui=0
_ds_load_b32 v[vgprValuB_X0_I0_D2+0], v[vgprLocalReadAddrB] offset:512 // L -> Reg lro=0 swapByteOffset=0 ti=128 vIdx=0 rIdx=2 oIdx=0 buffer=0 iui=0
v_mfma_f32_32x32x8_f16 v[32+0:47+0], v[vgprValuA_X3_I0+4+0+0:vgprValuA_X3_I0+4+0+0+1], v[vgprValuB_X3_I0+0+0+0:vgprValuB_X3_I0+0+0+0+1], v[32:47]
/*  mfmaIndex:21  */
_ds_load_b32 v[vgprValuB_X0_I0_D3+0], v[vgprLocalReadAddrB] offset:768 // L -> Reg lro=0 swapByteOffset=0 ti=128 vIdx=0 rIdx=3 oIdx=0 buffer=0 iui=0
_ds_load_u16 v[vgprValuA_X0_I0+2], v[vgprLocalReadAddrA] offset:128 // L -> Reg lro=0 swapByteOffset=0 ti=64 vIdx=1 rIdx=0 oIdx=0 buffer=0 iui=0
_ds_load_u16_d16_hi v[vgprValuA_X0_I0_D1+2], v[vgprLocalReadAddrA] offset:512 // L -> Reg lro=0 swapByteOffset=0 ti=64 vIdx=1 rIdx=1 oIdx=0 buffer=0 iui=0
v_mfma_f32_32x32x8_f16 v[80+0:95+0], v[vgprValuA_X3_I0+4+0+0:vgprValuA_X3_I0+4+0+0+1], v[vgprValuB_X3_I0+2+0+0:vgprValuB_X3_I0+2+0+0+1], v[80:95]
/*  mfmaIndex:22  */
_ds_load_u16 v[vgprValuA_X0_I0+3], v[vgprLocalReadAddrA] offset:896 // L -> Reg lro=0 swapByteOffset=0 ti=64 vIdx=1 rIdx=2 oIdx=0 buffer=0 iui=0
_ds_load_u16_d16_hi v[vgprValuA_X0_I0_D1+3], v[vgprLocalReadAddrA] offset:1280 // L -> Reg lro=0 swapByteOffset=0 ti=64 vIdx=1 rIdx=3 oIdx=0 buffer=0 iui=0
_ds_load_u16 v[vgprValuA_X0_I0+4], v[vgprLocalReadAddrA] offset:256 // L -> Reg lro=0 swapByteOffset=0 ti=64 vIdx=2 rIdx=0 oIdx=0 buffer=0 iui=0
v_mfma_f32_32x32x8_f16 v[64+0:79+0], v[vgprValuA_X3_I0+2+0+0:vgprValuA_X3_I0+2+0+0+1], v[vgprValuB_X3_I0+2+0+0:vgprValuB_X3_I0+2+0+0+1], v[64:79]
/*  mfmaIndex:23  */
_ds_load_u16_d16_hi v[vgprValuA_X0_I0_D1+4], v[vgprLocalReadAddrA] offset:640 // L -> Reg lro=0 swapByteOffset=0 ti=64 vIdx=2 rIdx=1 oIdx=0 buffer=0 iui=0
_ds_load_u16 v[vgprValuA_X0_I0+5], v[vgprLocalReadAddrA] offset:1024 // L -> Reg lro=0 swapByteOffset=0 ti=64 vIdx=2 rIdx=2 oIdx=0 buffer=0 iui=0
_ds_load_u16_d16_hi v[vgprValuA_X0_I0_D1+5], v[vgprLocalReadAddrA] offset:1408 // L -> Reg lro=0 swapByteOffset=0 ti=64 vIdx=2 rIdx=3 oIdx=0 buffer=0 iui=0
v_mfma_f32_32x32x8_f16 v[48+0:63+0], v[vgprValuA_X3_I0+0+0+0:vgprValuA_X3_I0+0+0+0+1], v[vgprValuB_X3_I0+2+0+0:vgprValuB_X3_I0+2+0+0+1], v[48:63]
/* numPrefetchIter=1 */
/* dataAtIterA=2 numReadsIterA=3 skipReadsIterA=1 readsPerIterA=12 */
/* dataAtIterB=2 numReadsIterB=3 skipReadsIterB=1 readsPerIterB=4 */


/******************************************/
/* Unrolled Loop - End 2/2 (final)        */
/******************************************/


/* closeLoop loopL finalLoop=1 tailLoop=0 */
s_sub_u32 s[sgprLoopCounterL], s[sgprLoopCounterL], 1 // dec counterL
s_cmp_eq_i32 s[sgprLoopCounterL], 0x2              // counterL==2
s_cbranch_scc0 LoopBeginL_1                        // restart LoopL
LoopEndL_evenexit_4: // unroll loop eveniter exit
v_xor_b32 v[vgprLocalWriteAddrA+0], 0x8000, v[vgprLocalWriteAddrA+0] // swap Red Blk
v_xor_b32 v[vgprLocalWriteAddrB+0], 0x8000, v[vgprLocalWriteAddrB+0] // swap Red Blk

/* (EPS=1) local write swap internal offset -> 0 */

/* (EPS=1) local write swap internal offset -> 0 */
s_branch LoopEndL_2                                // exit unroll loopL (and skip second exit code)
LoopEndL_oddexit_3: // unroll loop odditer exit

/* Select high bank of LDS */
v_xor_b32 v[vgprLocalReadAddrA], 0x8000, v[vgprLocalReadAddrA] // swap Red Blk
v_xor_b32 v[vgprLocalReadAddrB], 0x8000, v[vgprLocalReadAddrB] // swap Red Blk
LoopEndL_2:


/* Before NLL: Check VGPR.checkin for INT8 LW */


/******************************************/
/* Ord. NoGlobalLoadLoop - Begin                                      */
/******************************************/


	;; [unrolled: 1-line block ×3, first 2 shown]
/* iter 0 */

/*  grEndMfmaIndex:6, lwStartMfmaIndex:8, lwEndMfmaIndex:17  */
/*  numMfmaForLR:5, barrierMfmaIndex:18, LocalWritePerMfma:0.500 */
/*  mfmaIndex:0  */
s_waitcnt lgkmcnt(0)                               // lgkmcnt=0 vmcnt=-1wait for prior local read local write old=0, new=0 newLW=0 newLR=0
/* pack scheduling: packAIdx:2, packBIdx:2 */
v_or_b32 v[vgprValuA_X0_I0+0], v[vgprValuA_X0_I0+0], v[vgprValuA_X0_I0_D1+0] // pack two half Vgpr to one Vgpr
v_or_b32 v[vgprValuA_X0_I0+1], v[vgprValuA_X0_I0+1], v[vgprValuA_X0_I0_D1+1] // pack two half Vgpr to one Vgpr
v_perm_b32 v[vgprValuB_X0_I0+0], v[vgprValuB_X0_I0_D1+0], v[vgprValuB_X0_I0_D0+0], s[sgprPackKForV0] // select K=01 for vector=0
v_perm_b32 v[vgprValuB_X0_I0+1], v[vgprValuB_X0_I0_D3+0], v[vgprValuB_X0_I0_D2+0], s[sgprPackKForV0] // select K=23 for vector=0
v_or_b32 v[vgprValuA_X0_I0+2], v[vgprValuA_X0_I0+2], v[vgprValuA_X0_I0_D1+2] // pack two half Vgpr to one Vgpr
v_or_b32 v[vgprValuA_X0_I0+3], v[vgprValuA_X0_I0+3], v[vgprValuA_X0_I0_D1+3] // pack two half Vgpr to one Vgpr
v_mfma_f32_32x32x8_f16 v[0+0:15+0], v[vgprValuA_X0_I0+0+0+0:vgprValuA_X0_I0+0+0+0+1], v[vgprValuB_X0_I0+0+0+0:vgprValuB_X0_I0+0+0+0+1], v[0:15]
/*  mfmaIndex:1  */
_ds_load_u16 v[vgprValuA_X1_I0+0], v[vgprLocalReadAddrA] offset:3072 // L -> Reg lro=1536 swapByteOffset=0 ti=64 vIdx=0 rIdx=0 oIdx=0 buffer=1 iui=0
_ds_load_u16_d16_hi v[vgprValuA_X1_I0_D1+0], v[vgprLocalReadAddrA] offset:3456 // L -> Reg lro=1536 swapByteOffset=0 ti=64 vIdx=0 rIdx=1 oIdx=0 buffer=1 iui=0
_ds_load_u16 v[vgprValuA_X1_I0+1], v[vgprLocalReadAddrA] offset:3840 // L -> Reg lro=1536 swapByteOffset=0 ti=64 vIdx=0 rIdx=2 oIdx=0 buffer=1 iui=0
_ds_load_u16_d16_hi v[vgprValuA_X1_I0_D1+1], v[vgprLocalReadAddrA] offset:4224 // L -> Reg lro=1536 swapByteOffset=0 ti=64 vIdx=0 rIdx=3 oIdx=0 buffer=1 iui=0

/* global read inc A loopL */
s_cmp_eq_u32 s[sgprLoopCounterL], s[sgprStaggerUIter] // Is this the wrapIter?
s_cselect_b32 s62, s[sgprWrapUA+0], s[sgprGlobalReadIncsA+0] // incLower <- ?
s_cselect_b32 s63, s[sgprWrapUA+1], 0              // incUpper <- ?
/* pack scheduling: packAIdx:4, packBIdx:2 */
v_or_b32 v[vgprValuA_X0_I0+4], v[vgprValuA_X0_I0+4], v[vgprValuA_X0_I0_D1+4] // pack two half Vgpr to one Vgpr
v_or_b32 v[vgprValuA_X0_I0+5], v[vgprValuA_X0_I0+5], v[vgprValuA_X0_I0_D1+5] // pack two half Vgpr to one Vgpr
v_perm_b32 v[vgprValuB_X0_I0+2], v[vgprValuB_X0_I0_D1+0], v[vgprValuB_X0_I0_D0+0], s[sgprPackKForV1] // select K=01 for vector=1
v_perm_b32 v[vgprValuB_X0_I0+3], v[vgprValuB_X0_I0_D3+0], v[vgprValuB_X0_I0_D2+0], s[sgprPackKForV1] // select K=23 for vector=1
v_mfma_f32_32x32x8_f16 v[16+0:31+0], v[vgprValuA_X0_I0+2+0+0:vgprValuA_X0_I0+2+0+0+1], v[vgprValuB_X0_I0+0+0+0:vgprValuB_X0_I0+0+0+0+1], v[16:31]
/*  mfmaIndex:2  */
_ds_load_b32 v[vgprValuB_X1_I0_D0+0], v[vgprLocalReadAddrB] offset:2048 // L -> Reg lro=1024 swapByteOffset=0 ti=128 vIdx=0 rIdx=0 oIdx=0 buffer=1 iui=0
_ds_load_b32 v[vgprValuB_X1_I0_D1+0], v[vgprLocalReadAddrB] offset:2304 // L -> Reg lro=1024 swapByteOffset=0 ti=128 vIdx=0 rIdx=1 oIdx=0 buffer=1 iui=0
_ds_load_b32 v[vgprValuB_X1_I0_D2+0], v[vgprLocalReadAddrB] offset:2560 // L -> Reg lro=1024 swapByteOffset=0 ti=128 vIdx=0 rIdx=2 oIdx=0 buffer=1 iui=0
s_add_u32 s[sgprSrdA+0], s[sgprSrdA+0], s62        // gra SRD += inc(lower)
s_addc_u32  s[sgprSrdA+1], s[sgprSrdA+1], s63      // gra SRD += inc(upper)
s_sub_u32 s[sgprShadowLimitA+0], s[sgprShadowLimitA+0], s62 // limit -= inc)
v_mfma_f32_32x32x8_f16 v[32+0:47+0], v[vgprValuA_X0_I0+4+0+0:vgprValuA_X0_I0+4+0+0+1], v[vgprValuB_X0_I0+0+0+0:vgprValuB_X0_I0+0+0+0+1], v[32:47]
/*  mfmaIndex:3  */
_ds_load_b32 v[vgprValuB_X1_I0_D3+0], v[vgprLocalReadAddrB] offset:2816 // L -> Reg lro=1024 swapByteOffset=0 ti=128 vIdx=0 rIdx=3 oIdx=0 buffer=1 iui=0
_ds_load_u16 v[vgprValuA_X1_I0+2], v[vgprLocalReadAddrA] offset:3200 // L -> Reg lro=1536 swapByteOffset=0 ti=64 vIdx=1 rIdx=0 oIdx=0 buffer=1 iui=0
_ds_load_u16_d16_hi v[vgprValuA_X1_I0_D1+2], v[vgprLocalReadAddrA] offset:3584 // L -> Reg lro=1536 swapByteOffset=0 ti=64 vIdx=1 rIdx=1 oIdx=0 buffer=1 iui=0
s_subb_u32 s[sgprShadowLimitA+1], s[sgprShadowLimitA+1], s63 // limit -= inc)
s_cmp_eq_u32 s[sgprShadowLimitA+1], 0              // are we within 2^32?
s_cselect_b32 s[sgprSrdA+2], s[sgprShadowLimitA+0], BufferLimitA // Move shadow to real if we are within 2^32
v_mfma_f32_32x32x8_f16 v[80+0:95+0], v[vgprValuA_X0_I0+4+0+0:vgprValuA_X0_I0+4+0+0+1], v[vgprValuB_X0_I0+2+0+0:vgprValuB_X0_I0+2+0+0+1], v[80:95]
/*  mfmaIndex:4  */
_ds_load_u16 v[vgprValuA_X1_I0+3], v[vgprLocalReadAddrA] offset:3968 // L -> Reg lro=1536 swapByteOffset=0 ti=64 vIdx=1 rIdx=2 oIdx=0 buffer=1 iui=0
_ds_load_u16_d16_hi v[vgprValuA_X1_I0_D1+3], v[vgprLocalReadAddrA] offset:4352 // L -> Reg lro=1536 swapByteOffset=0 ti=64 vIdx=1 rIdx=3 oIdx=0 buffer=1 iui=0
_ds_load_u16 v[vgprValuA_X1_I0+4], v[vgprLocalReadAddrA] offset:3328 // L -> Reg lro=1536 swapByteOffset=0 ti=64 vIdx=2 rIdx=0 oIdx=0 buffer=1 iui=0

/* global read inc B loopL */
s_cmp_eq_u32 s[sgprLoopCounterL], s[sgprStaggerUIter] // Is this the wrapIter?
s_cselect_b32 s62, s[sgprWrapUB+0], s[sgprGlobalReadIncsB+0] // incLower <- ?
s_cselect_b32 s63, s[sgprWrapUB+1], 0              // incUpper <- ?
v_mfma_f32_32x32x8_f16 v[64+0:79+0], v[vgprValuA_X0_I0+2+0+0:vgprValuA_X0_I0+2+0+0+1], v[vgprValuB_X0_I0+2+0+0:vgprValuB_X0_I0+2+0+0+1], v[64:79]
/*  mfmaIndex:5  */
_ds_load_u16_d16_hi v[vgprValuA_X1_I0_D1+4], v[vgprLocalReadAddrA] offset:3712 // L -> Reg lro=1536 swapByteOffset=0 ti=64 vIdx=2 rIdx=1 oIdx=0 buffer=1 iui=0
_ds_load_u16 v[vgprValuA_X1_I0+5], v[vgprLocalReadAddrA] offset:4096 // L -> Reg lro=1536 swapByteOffset=0 ti=64 vIdx=2 rIdx=2 oIdx=0 buffer=1 iui=0
_ds_load_u16_d16_hi v[vgprValuA_X1_I0_D1+5], v[vgprLocalReadAddrA] offset:4480 // L -> Reg lro=1536 swapByteOffset=0 ti=64 vIdx=2 rIdx=3 oIdx=0 buffer=1 iui=0
s_add_u32 s[sgprSrdB+0], s[sgprSrdB+0], s62        // gra SRD += inc(lower)
s_addc_u32  s[sgprSrdB+1], s[sgprSrdB+1], s63      // gra SRD += inc(upper)
s_sub_u32 s[sgprShadowLimitB+0], s[sgprShadowLimitB+0], s62 // limit -= inc)
v_mfma_f32_32x32x8_f16 v[48+0:63+0], v[vgprValuA_X0_I0+0+0+0:vgprValuA_X0_I0+0+0+0+1], v[vgprValuB_X0_I0+2+0+0:vgprValuB_X0_I0+2+0+0+1], v[48:63]
/* numPrefetchIter=0 */
/* dataAtIterA=-1 numReadsIterA=1 skipReadsIterA=1 readsPerIterA=12 */
/* dataAtIterB=-1 numReadsIterB=1 skipReadsIterB=1 readsPerIterB=4 */


/* iter 1 */

/*  grEndMfmaIndex:6, lwStartMfmaIndex:8, lwEndMfmaIndex:17  */
/*  numMfmaForLR:5, barrierMfmaIndex:18, LocalWritePerMfma:0.500 */
/*  mfmaIndex:6  */
_ds_load_u16 v[vgprValuA_X2_I0+0], v[vgprLocalReadAddrA] offset:6144 // L -> Reg lro=3072 swapByteOffset=0 ti=64 vIdx=0 rIdx=0 oIdx=0 buffer=2 iui=0
_ds_load_u16_d16_hi v[vgprValuA_X2_I0_D1+0], v[vgprLocalReadAddrA] offset:6528 // L -> Reg lro=3072 swapByteOffset=0 ti=64 vIdx=0 rIdx=1 oIdx=0 buffer=2 iui=0
_ds_load_u16 v[vgprValuA_X2_I0+1], v[vgprLocalReadAddrA] offset:6912 // L -> Reg lro=3072 swapByteOffset=0 ti=64 vIdx=0 rIdx=2 oIdx=0 buffer=2 iui=0
s_subb_u32 s[sgprShadowLimitB+1], s[sgprShadowLimitB+1], s63 // limit -= inc)
s_cmp_eq_u32 s[sgprShadowLimitB+1], 0              // are we within 2^32?
s_cselect_b32 s[sgprSrdB+2], s[sgprShadowLimitB+0], BufferLimitB // Move shadow to real if we are within 2^32
s_waitcnt lgkmcnt(3)                               // lgkmcnt=0 vmcnt=-1wait for prior local read local write old=0, new=3 newLW=0 newLR=3
/* pack scheduling: packAIdx:2, packBIdx:2 */
v_or_b32 v[vgprValuA_X1_I0+0], v[vgprValuA_X1_I0+0], v[vgprValuA_X1_I0_D1+0] // pack two half Vgpr to one Vgpr
v_or_b32 v[vgprValuA_X1_I0+1], v[vgprValuA_X1_I0+1], v[vgprValuA_X1_I0_D1+1] // pack two half Vgpr to one Vgpr
v_perm_b32 v[vgprValuB_X1_I0+0], v[vgprValuB_X1_I0_D1+0], v[vgprValuB_X1_I0_D0+0], s[sgprPackKForV0] // select K=01 for vector=0
v_perm_b32 v[vgprValuB_X1_I0+1], v[vgprValuB_X1_I0_D3+0], v[vgprValuB_X1_I0_D2+0], s[sgprPackKForV0] // select K=23 for vector=0
v_or_b32 v[vgprValuA_X1_I0+2], v[vgprValuA_X1_I0+2], v[vgprValuA_X1_I0_D1+2] // pack two half Vgpr to one Vgpr
v_or_b32 v[vgprValuA_X1_I0+3], v[vgprValuA_X1_I0+3], v[vgprValuA_X1_I0_D1+3] // pack two half Vgpr to one Vgpr
v_mfma_f32_32x32x8_f16 v[0+0:15+0], v[vgprValuA_X1_I0+0+0+0:vgprValuA_X1_I0+0+0+0+1], v[vgprValuB_X1_I0+0+0+0:vgprValuB_X1_I0+0+0+0+1], v[0:15]
/*  mfmaIndex:7  */
_ds_load_u16_d16_hi v[vgprValuA_X2_I0_D1+1], v[vgprLocalReadAddrA] offset:7296 // L -> Reg lro=3072 swapByteOffset=0 ti=64 vIdx=0 rIdx=3 oIdx=0 buffer=2 iui=0
_ds_load_b32 v[vgprValuB_X2_I0_D0+0], v[vgprLocalReadAddrB] offset:4096 // L -> Reg lro=2048 swapByteOffset=0 ti=128 vIdx=0 rIdx=0 oIdx=0 buffer=2 iui=0
_ds_load_b32 v[vgprValuB_X2_I0_D1+0], v[vgprLocalReadAddrB] offset:4352 // L -> Reg lro=2048 swapByteOffset=0 ti=128 vIdx=0 rIdx=1 oIdx=0 buffer=2 iui=0
/* pack scheduling: packAIdx:4, packBIdx:2 */
v_or_b32 v[vgprValuA_X1_I0+4], v[vgprValuA_X1_I0+4], v[vgprValuA_X1_I0_D1+4] // pack two half Vgpr to one Vgpr
v_or_b32 v[vgprValuA_X1_I0+5], v[vgprValuA_X1_I0+5], v[vgprValuA_X1_I0_D1+5] // pack two half Vgpr to one Vgpr
v_perm_b32 v[vgprValuB_X1_I0+2], v[vgprValuB_X1_I0_D1+0], v[vgprValuB_X1_I0_D0+0], s[sgprPackKForV1] // select K=01 for vector=1
v_perm_b32 v[vgprValuB_X1_I0+3], v[vgprValuB_X1_I0_D3+0], v[vgprValuB_X1_I0_D2+0], s[sgprPackKForV1] // select K=23 for vector=1
v_mfma_f32_32x32x8_f16 v[16+0:31+0], v[vgprValuA_X1_I0+2+0+0:vgprValuA_X1_I0+2+0+0+1], v[vgprValuB_X1_I0+0+0+0:vgprValuB_X1_I0+0+0+0+1], v[16:31]
/*  mfmaIndex:8  */
_ds_load_b32 v[vgprValuB_X2_I0_D2+0], v[vgprLocalReadAddrB] offset:4608 // L -> Reg lro=2048 swapByteOffset=0 ti=128 vIdx=0 rIdx=2 oIdx=0 buffer=2 iui=0
_ds_load_b32 v[vgprValuB_X2_I0_D3+0], v[vgprLocalReadAddrB] offset:4864 // L -> Reg lro=2048 swapByteOffset=0 ti=128 vIdx=0 rIdx=3 oIdx=0 buffer=2 iui=0
_ds_load_u16 v[vgprValuA_X2_I0+2], v[vgprLocalReadAddrA] offset:6272 // L -> Reg lro=3072 swapByteOffset=0 ti=64 vIdx=1 rIdx=0 oIdx=0 buffer=2 iui=0
/* sched write - iter 1 writesPerItem=1 */
s_waitcnt vmcnt(0)                                 // lgkmcnt=-1 vmcnt=0wait for global read before writing to local
_ds_store_b128 v[vgprLocalWriteAddrA], v[vgprG2LA+0:vgprG2LA+0+3] offset:0 // lwoA_0_0_0_0 = (0*LSCA) + (0*LSPA)(*MT0I+PAD) = 0
v_mfma_f32_32x32x8_f16 v[32+0:47+0], v[vgprValuA_X1_I0+4+0+0:vgprValuA_X1_I0+4+0+0+1], v[vgprValuB_X1_I0+0+0+0:vgprValuB_X1_I0+0+0+0+1], v[32:47]
/*  mfmaIndex:9  */
_ds_load_u16_d16_hi v[vgprValuA_X2_I0_D1+2], v[vgprLocalReadAddrA] offset:6656 // L -> Reg lro=3072 swapByteOffset=0 ti=64 vIdx=1 rIdx=1 oIdx=0 buffer=2 iui=0
_ds_load_u16 v[vgprValuA_X2_I0+3], v[vgprLocalReadAddrA] offset:7040 // L -> Reg lro=3072 swapByteOffset=0 ti=64 vIdx=1 rIdx=2 oIdx=0 buffer=2 iui=0
_ds_load_u16_d16_hi v[vgprValuA_X2_I0_D1+3], v[vgprLocalReadAddrA] offset:7424 // L -> Reg lro=3072 swapByteOffset=0 ti=64 vIdx=1 rIdx=3 oIdx=0 buffer=2 iui=0
v_mfma_f32_32x32x8_f16 v[80+0:95+0], v[vgprValuA_X1_I0+4+0+0:vgprValuA_X1_I0+4+0+0+1], v[vgprValuB_X1_I0+2+0+0:vgprValuB_X1_I0+2+0+0+1], v[80:95]
/*  mfmaIndex:10  */
_ds_load_u16 v[vgprValuA_X2_I0+4], v[vgprLocalReadAddrA] offset:6400 // L -> Reg lro=3072 swapByteOffset=0 ti=64 vIdx=2 rIdx=0 oIdx=0 buffer=2 iui=0
_ds_load_u16_d16_hi v[vgprValuA_X2_I0_D1+4], v[vgprLocalReadAddrA] offset:6784 // L -> Reg lro=3072 swapByteOffset=0 ti=64 vIdx=2 rIdx=1 oIdx=0 buffer=2 iui=0
/* sched write - iter 1 writesPerItem=1 */
s_waitcnt vmcnt(0)                                 // lgkmcnt=-1 vmcnt=0wait for global read before writing to local
_ds_store_b128 v[vgprLocalWriteAddrA], v[vgprG2LA+4:vgprG2LA+4+3] offset:128 // lwoA_1_0_0_0 = (1*LSCA) + (0*LSPA)(*MT0I+PAD) = 128
v_mfma_f32_32x32x8_f16 v[64+0:79+0], v[vgprValuA_X1_I0+2+0+0:vgprValuA_X1_I0+2+0+0+1], v[vgprValuB_X1_I0+2+0+0:vgprValuB_X1_I0+2+0+0+1], v[64:79]
/*  mfmaIndex:11  */
_ds_load_u16 v[vgprValuA_X2_I0+5], v[vgprLocalReadAddrA] offset:7168 // L -> Reg lro=3072 swapByteOffset=0 ti=64 vIdx=2 rIdx=2 oIdx=0 buffer=2 iui=0
_ds_load_u16_d16_hi v[vgprValuA_X2_I0_D1+5], v[vgprLocalReadAddrA] offset:7552 // L -> Reg lro=3072 swapByteOffset=0 ti=64 vIdx=2 rIdx=3 oIdx=0 buffer=2 iui=0
/* localReadsVacancy: latencyLeft 2 */
_ds_load_u16 v[vgprValuA_X3_I0+0], v[vgprLocalReadAddrA] offset:9216 // L -> Reg lro=4608 swapByteOffset=0 ti=64 vIdx=0 rIdx=0 oIdx=0 buffer=3 iui=0
v_mfma_f32_32x32x8_f16 v[48+0:63+0], v[vgprValuA_X1_I0+0+0+0:vgprValuA_X1_I0+0+0+0+1], v[vgprValuB_X1_I0+2+0+0:vgprValuB_X1_I0+2+0+0+1], v[48:63]
/* numPrefetchIter=0 */
/* dataAtIterA=0 numReadsIterA=2 skipReadsIterA=1 readsPerIterA=12 */
/* dataAtIterB=0 numReadsIterB=2 skipReadsIterB=1 readsPerIterB=4 */


/* iter 2 (reset local read pointers iteration)  (swap and reset local write pointers iteration)  (swap local read pointers iteration)  */

/*  grEndMfmaIndex:6, lwStartMfmaIndex:8, lwEndMfmaIndex:17  */
/*  numMfmaForLR:5, barrierMfmaIndex:18, LocalWritePerMfma:0.500 */
/*  mfmaIndex:12  */
_ds_load_u16_d16_hi v[vgprValuA_X3_I0_D1+0], v[vgprLocalReadAddrA] offset:9600 // L -> Reg lro=4608 swapByteOffset=0 ti=64 vIdx=0 rIdx=1 oIdx=0 buffer=3 iui=0
_ds_load_u16 v[vgprValuA_X3_I0+1], v[vgprLocalReadAddrA] offset:9984 // L -> Reg lro=4608 swapByteOffset=0 ti=64 vIdx=0 rIdx=2 oIdx=0 buffer=3 iui=0
_ds_load_u16_d16_hi v[vgprValuA_X3_I0_D1+1], v[vgprLocalReadAddrA] offset:10368 // L -> Reg lro=4608 swapByteOffset=0 ti=64 vIdx=0 rIdx=3 oIdx=0 buffer=3 iui=0
/* sched write - iter 2 writesPerItem=1 */
s_waitcnt vmcnt(0)                                 // lgkmcnt=-1 vmcnt=0wait for global read before writing to local
_ds_store_b128 v[vgprLocalWriteAddrA], v[vgprG2LA+8:vgprG2LA+8+3] offset:256 // lwoA_2_0_0_0 = (2*LSCA) + (0*LSPA)(*MT0I+PAD) = 256
s_waitcnt lgkmcnt(5)                               // lgkmcnt=0 vmcnt=-1wait for prior local read local write old=1, new=5 newLW=1 newLR=3
/* pack scheduling: packAIdx:2, packBIdx:2 */
v_or_b32 v[vgprValuA_X2_I0+0], v[vgprValuA_X2_I0+0], v[vgprValuA_X2_I0_D1+0] // pack two half Vgpr to one Vgpr
v_or_b32 v[vgprValuA_X2_I0+1], v[vgprValuA_X2_I0+1], v[vgprValuA_X2_I0_D1+1] // pack two half Vgpr to one Vgpr
v_perm_b32 v[vgprValuB_X2_I0+0], v[vgprValuB_X2_I0_D1+0], v[vgprValuB_X2_I0_D0+0], s[sgprPackKForV0] // select K=01 for vector=0
v_perm_b32 v[vgprValuB_X2_I0+1], v[vgprValuB_X2_I0_D3+0], v[vgprValuB_X2_I0_D2+0], s[sgprPackKForV0] // select K=23 for vector=0
v_or_b32 v[vgprValuA_X2_I0+2], v[vgprValuA_X2_I0+2], v[vgprValuA_X2_I0_D1+2] // pack two half Vgpr to one Vgpr
v_or_b32 v[vgprValuA_X2_I0+3], v[vgprValuA_X2_I0+3], v[vgprValuA_X2_I0_D1+3] // pack two half Vgpr to one Vgpr
v_mfma_f32_32x32x8_f16 v[0+0:15+0], v[vgprValuA_X2_I0+0+0+0:vgprValuA_X2_I0+0+0+0+1], v[vgprValuB_X2_I0+0+0+0:vgprValuB_X2_I0+0+0+0+1], v[0:15]
/*  mfmaIndex:13  */
_ds_load_b32 v[vgprValuB_X3_I0_D0+0], v[vgprLocalReadAddrB] offset:6144 // L -> Reg lro=3072 swapByteOffset=0 ti=128 vIdx=0 rIdx=0 oIdx=0 buffer=3 iui=0
_ds_load_b32 v[vgprValuB_X3_I0_D1+0], v[vgprLocalReadAddrB] offset:6400 // L -> Reg lro=3072 swapByteOffset=0 ti=128 vIdx=0 rIdx=1 oIdx=0 buffer=3 iui=0
_ds_load_b32 v[vgprValuB_X3_I0_D2+0], v[vgprLocalReadAddrB] offset:6656 // L -> Reg lro=3072 swapByteOffset=0 ti=128 vIdx=0 rIdx=2 oIdx=0 buffer=3 iui=0
/* pack scheduling: packAIdx:4, packBIdx:2 */
v_or_b32 v[vgprValuA_X2_I0+4], v[vgprValuA_X2_I0+4], v[vgprValuA_X2_I0_D1+4] // pack two half Vgpr to one Vgpr
v_or_b32 v[vgprValuA_X2_I0+5], v[vgprValuA_X2_I0+5], v[vgprValuA_X2_I0_D1+5] // pack two half Vgpr to one Vgpr
v_perm_b32 v[vgprValuB_X2_I0+2], v[vgprValuB_X2_I0_D1+0], v[vgprValuB_X2_I0_D0+0], s[sgprPackKForV1] // select K=01 for vector=1
v_perm_b32 v[vgprValuB_X2_I0+3], v[vgprValuB_X2_I0_D3+0], v[vgprValuB_X2_I0_D2+0], s[sgprPackKForV1] // select K=23 for vector=1
v_mfma_f32_32x32x8_f16 v[16+0:31+0], v[vgprValuA_X2_I0+2+0+0:vgprValuA_X2_I0+2+0+0+1], v[vgprValuB_X2_I0+0+0+0:vgprValuB_X2_I0+0+0+0+1], v[16:31]
/*  mfmaIndex:14  */
_ds_load_b32 v[vgprValuB_X3_I0_D3+0], v[vgprLocalReadAddrB] offset:6912 // L -> Reg lro=3072 swapByteOffset=0 ti=128 vIdx=0 rIdx=3 oIdx=0 buffer=3 iui=0
_ds_load_u16 v[vgprValuA_X3_I0+2], v[vgprLocalReadAddrA] offset:9344 // L -> Reg lro=4608 swapByteOffset=0 ti=64 vIdx=1 rIdx=0 oIdx=0 buffer=3 iui=0
_ds_load_u16_d16_hi v[vgprValuA_X3_I0_D1+2], v[vgprLocalReadAddrA] offset:9728 // L -> Reg lro=4608 swapByteOffset=0 ti=64 vIdx=1 rIdx=1 oIdx=0 buffer=3 iui=0
/* sched write - iter 2 writesPerItem=1 */
s_waitcnt vmcnt(0)                                 // lgkmcnt=-1 vmcnt=0wait for global read before writing to local
_ds_store_b128 v[vgprLocalWriteAddrB], v[vgprG2LB+0:vgprG2LB+0+3] offset:0 // lwoB_0_0_0_0 = (0*LSCB) + (0*LSPB)(*MT1J+PAD) = 0
v_mfma_f32_32x32x8_f16 v[32+0:47+0], v[vgprValuA_X2_I0+4+0+0:vgprValuA_X2_I0+4+0+0+1], v[vgprValuB_X2_I0+0+0+0:vgprValuB_X2_I0+0+0+0+1], v[32:47]
/*  mfmaIndex:15  */
_ds_load_u16 v[vgprValuA_X3_I0+3], v[vgprLocalReadAddrA] offset:10112 // L -> Reg lro=4608 swapByteOffset=0 ti=64 vIdx=1 rIdx=2 oIdx=0 buffer=3 iui=0
_ds_load_u16_d16_hi v[vgprValuA_X3_I0_D1+3], v[vgprLocalReadAddrA] offset:10496 // L -> Reg lro=4608 swapByteOffset=0 ti=64 vIdx=1 rIdx=3 oIdx=0 buffer=3 iui=0
_ds_load_u16 v[vgprValuA_X3_I0+4], v[vgprLocalReadAddrA] offset:9472 // L -> Reg lro=4608 swapByteOffset=0 ti=64 vIdx=2 rIdx=0 oIdx=0 buffer=3 iui=0
v_mfma_f32_32x32x8_f16 v[80+0:95+0], v[vgprValuA_X2_I0+4+0+0:vgprValuA_X2_I0+4+0+0+1], v[vgprValuB_X2_I0+2+0+0:vgprValuB_X2_I0+2+0+0+1], v[80:95]
/*  mfmaIndex:16  */
_ds_load_u16_d16_hi v[vgprValuA_X3_I0_D1+4], v[vgprLocalReadAddrA] offset:9856 // L -> Reg lro=4608 swapByteOffset=0 ti=64 vIdx=2 rIdx=1 oIdx=0 buffer=3 iui=0
_ds_load_u16 v[vgprValuA_X3_I0+5], v[vgprLocalReadAddrA] offset:10240 // L -> Reg lro=4608 swapByteOffset=0 ti=64 vIdx=2 rIdx=2 oIdx=0 buffer=3 iui=0
/* sched write - iter 2 writesPerItem=1 */
s_waitcnt vmcnt(0)                                 // lgkmcnt=-1 vmcnt=0wait for global read before writing to local
_ds_store_b128 v[vgprLocalWriteAddrB], v[vgprG2LB+4:vgprG2LB+4+3] offset:4096 // lwoB_0_0_1_0 = (0*LSCB) + (1*LSPB)(*MT1J+PAD) = 4096
v_mfma_f32_32x32x8_f16 v[64+0:79+0], v[vgprValuA_X2_I0+2+0+0:vgprValuA_X2_I0+2+0+0+1], v[vgprValuB_X2_I0+2+0+0:vgprValuB_X2_I0+2+0+0+1], v[64:79]
/*  mfmaIndex:17  */
_ds_load_u16_d16_hi v[vgprValuA_X3_I0_D1+5], v[vgprLocalReadAddrA] offset:10624 // L -> Reg lro=4608 swapByteOffset=0 ti=64 vIdx=2 rIdx=3 oIdx=0 buffer=3 iui=0
/* localReadsVacancy: latencyLeft 4 */

/* local write swap offsets a */

/* (EPS=1) local write swap internal offset -> 32768 */

/* local write swap offsets b */

/* (EPS=1) local write swap internal offset -> 32768 */

/* local read swap offsets a */
v_xor_b32 v[vgprLocalReadAddrA], 0x8000, v[vgprLocalReadAddrA] // swap Red Blk

/* local read swap offsets b */
v_xor_b32 v[vgprLocalReadAddrB], 0x8000, v[vgprLocalReadAddrB] // swap Red Blk

/* local read init pointers a */

/* localReadInitPointers */

/* local read init pointers b */

/* localReadInitPointers */
v_mfma_f32_32x32x8_f16 v[48+0:63+0], v[vgprValuA_X2_I0+0+0+0:vgprValuA_X2_I0+0+0+0+1], v[vgprValuB_X2_I0+2+0+0:vgprValuB_X2_I0+2+0+0+1], v[48:63]
/* numPrefetchIter=0 */
/* dataAtIterA=1 numReadsIterA=3 skipReadsIterA=1 readsPerIterA=12 */
/* dataAtIterB=1 numReadsIterB=3 skipReadsIterB=1 readsPerIterB=4 */


/* iter 3 */

/*  grEndMfmaIndex:6, lwStartMfmaIndex:8, lwEndMfmaIndex:17  */
/*  numMfmaForLR:5, barrierMfmaIndex:18, LocalWritePerMfma:0.500 */
/*  mfmaIndex:18  */
s_waitcnt lgkmcnt(0)                               // lgkmcnt=0 vmcnt=-13wait for local write
// Skip force waitcnt0
s_barrier //
s_waitcnt lgkmcnt(0)                               // lgkmcnt=0 vmcnt=-1wait for prior local read local write old=0, new=0 newLW=0 newLR=0
/* pack scheduling: packAIdx:2, packBIdx:2 */
v_or_b32 v[vgprValuA_X3_I0+0], v[vgprValuA_X3_I0+0], v[vgprValuA_X3_I0_D1+0] // pack two half Vgpr to one Vgpr
v_or_b32 v[vgprValuA_X3_I0+1], v[vgprValuA_X3_I0+1], v[vgprValuA_X3_I0_D1+1] // pack two half Vgpr to one Vgpr
v_perm_b32 v[vgprValuB_X3_I0+0], v[vgprValuB_X3_I0_D1+0], v[vgprValuB_X3_I0_D0+0], s[sgprPackKForV0] // select K=01 for vector=0
v_perm_b32 v[vgprValuB_X3_I0+1], v[vgprValuB_X3_I0_D3+0], v[vgprValuB_X3_I0_D2+0], s[sgprPackKForV0] // select K=23 for vector=0
v_or_b32 v[vgprValuA_X3_I0+2], v[vgprValuA_X3_I0+2], v[vgprValuA_X3_I0_D1+2] // pack two half Vgpr to one Vgpr
v_or_b32 v[vgprValuA_X3_I0+3], v[vgprValuA_X3_I0+3], v[vgprValuA_X3_I0_D1+3] // pack two half Vgpr to one Vgpr
v_mfma_f32_32x32x8_f16 v[0+0:15+0], v[vgprValuA_X3_I0+0+0+0:vgprValuA_X3_I0+0+0+0+1], v[vgprValuB_X3_I0+0+0+0:vgprValuB_X3_I0+0+0+0+1], v[0:15]
/*  mfmaIndex:19  */
_ds_load_u16 v[vgprValuA_X0_I0+0], v[vgprLocalReadAddrA] offset:0 // L -> Reg lro=0 swapByteOffset=0 ti=64 vIdx=0 rIdx=0 oIdx=0 buffer=0 iui=0
_ds_load_u16_d16_hi v[vgprValuA_X0_I0_D1+0], v[vgprLocalReadAddrA] offset:384 // L -> Reg lro=0 swapByteOffset=0 ti=64 vIdx=0 rIdx=1 oIdx=0 buffer=0 iui=0
_ds_load_u16 v[vgprValuA_X0_I0+1], v[vgprLocalReadAddrA] offset:768 // L -> Reg lro=0 swapByteOffset=0 ti=64 vIdx=0 rIdx=2 oIdx=0 buffer=0 iui=0
_ds_load_u16_d16_hi v[vgprValuA_X0_I0_D1+1], v[vgprLocalReadAddrA] offset:1152 // L -> Reg lro=0 swapByteOffset=0 ti=64 vIdx=0 rIdx=3 oIdx=0 buffer=0 iui=0
/* pack scheduling: packAIdx:4, packBIdx:2 */
v_or_b32 v[vgprValuA_X3_I0+4], v[vgprValuA_X3_I0+4], v[vgprValuA_X3_I0_D1+4] // pack two half Vgpr to one Vgpr
v_or_b32 v[vgprValuA_X3_I0+5], v[vgprValuA_X3_I0+5], v[vgprValuA_X3_I0_D1+5] // pack two half Vgpr to one Vgpr
v_perm_b32 v[vgprValuB_X3_I0+2], v[vgprValuB_X3_I0_D1+0], v[vgprValuB_X3_I0_D0+0], s[sgprPackKForV1] // select K=01 for vector=1
v_perm_b32 v[vgprValuB_X3_I0+3], v[vgprValuB_X3_I0_D3+0], v[vgprValuB_X3_I0_D2+0], s[sgprPackKForV1] // select K=23 for vector=1
v_mfma_f32_32x32x8_f16 v[16+0:31+0], v[vgprValuA_X3_I0+2+0+0:vgprValuA_X3_I0+2+0+0+1], v[vgprValuB_X3_I0+0+0+0:vgprValuB_X3_I0+0+0+0+1], v[16:31]
/*  mfmaIndex:20  */
_ds_load_b32 v[vgprValuB_X0_I0_D0+0], v[vgprLocalReadAddrB] offset:0 // L -> Reg lro=0 swapByteOffset=0 ti=128 vIdx=0 rIdx=0 oIdx=0 buffer=0 iui=0
_ds_load_b32 v[vgprValuB_X0_I0_D1+0], v[vgprLocalReadAddrB] offset:256 // L -> Reg lro=0 swapByteOffset=0 ti=128 vIdx=0 rIdx=1 oIdx=0 buffer=0 iui=0
_ds_load_b32 v[vgprValuB_X0_I0_D2+0], v[vgprLocalReadAddrB] offset:512 // L -> Reg lro=0 swapByteOffset=0 ti=128 vIdx=0 rIdx=2 oIdx=0 buffer=0 iui=0
v_mfma_f32_32x32x8_f16 v[32+0:47+0], v[vgprValuA_X3_I0+4+0+0:vgprValuA_X3_I0+4+0+0+1], v[vgprValuB_X3_I0+0+0+0:vgprValuB_X3_I0+0+0+0+1], v[32:47]
/*  mfmaIndex:21  */
_ds_load_b32 v[vgprValuB_X0_I0_D3+0], v[vgprLocalReadAddrB] offset:768 // L -> Reg lro=0 swapByteOffset=0 ti=128 vIdx=0 rIdx=3 oIdx=0 buffer=0 iui=0
_ds_load_u16 v[vgprValuA_X0_I0+2], v[vgprLocalReadAddrA] offset:128 // L -> Reg lro=0 swapByteOffset=0 ti=64 vIdx=1 rIdx=0 oIdx=0 buffer=0 iui=0
_ds_load_u16_d16_hi v[vgprValuA_X0_I0_D1+2], v[vgprLocalReadAddrA] offset:512 // L -> Reg lro=0 swapByteOffset=0 ti=64 vIdx=1 rIdx=1 oIdx=0 buffer=0 iui=0
v_mfma_f32_32x32x8_f16 v[80+0:95+0], v[vgprValuA_X3_I0+4+0+0:vgprValuA_X3_I0+4+0+0+1], v[vgprValuB_X3_I0+2+0+0:vgprValuB_X3_I0+2+0+0+1], v[80:95]
/*  mfmaIndex:22  */
_ds_load_u16 v[vgprValuA_X0_I0+3], v[vgprLocalReadAddrA] offset:896 // L -> Reg lro=0 swapByteOffset=0 ti=64 vIdx=1 rIdx=2 oIdx=0 buffer=0 iui=0
_ds_load_u16_d16_hi v[vgprValuA_X0_I0_D1+3], v[vgprLocalReadAddrA] offset:1280 // L -> Reg lro=0 swapByteOffset=0 ti=64 vIdx=1 rIdx=3 oIdx=0 buffer=0 iui=0
_ds_load_u16 v[vgprValuA_X0_I0+4], v[vgprLocalReadAddrA] offset:256 // L -> Reg lro=0 swapByteOffset=0 ti=64 vIdx=2 rIdx=0 oIdx=0 buffer=0 iui=0
v_mfma_f32_32x32x8_f16 v[64+0:79+0], v[vgprValuA_X3_I0+2+0+0:vgprValuA_X3_I0+2+0+0+1], v[vgprValuB_X3_I0+2+0+0:vgprValuB_X3_I0+2+0+0+1], v[64:79]
/*  mfmaIndex:23  */
_ds_load_u16_d16_hi v[vgprValuA_X0_I0_D1+4], v[vgprLocalReadAddrA] offset:640 // L -> Reg lro=0 swapByteOffset=0 ti=64 vIdx=2 rIdx=1 oIdx=0 buffer=0 iui=0
_ds_load_u16 v[vgprValuA_X0_I0+5], v[vgprLocalReadAddrA] offset:1024 // L -> Reg lro=0 swapByteOffset=0 ti=64 vIdx=2 rIdx=2 oIdx=0 buffer=0 iui=0
_ds_load_u16_d16_hi v[vgprValuA_X0_I0_D1+5], v[vgprLocalReadAddrA] offset:1408 // L -> Reg lro=0 swapByteOffset=0 ti=64 vIdx=2 rIdx=3 oIdx=0 buffer=0 iui=0
v_mfma_f32_32x32x8_f16 v[48+0:63+0], v[vgprValuA_X3_I0+0+0+0:vgprValuA_X3_I0+0+0+0+1], v[vgprValuB_X3_I0+2+0+0:vgprValuB_X3_I0+2+0+0+1], v[48:63]
/* numPrefetchIter=1 */
/* dataAtIterA=2 numReadsIterA=3 skipReadsIterA=1 readsPerIterA=12 */
/* dataAtIterB=2 numReadsIterB=3 skipReadsIterB=1 readsPerIterB=4 */

label_0014:


/******************************************/
/* Ord. NoLoadLoop - Begin                                      */
/******************************************/


	;; [unrolled: 1-line block ×4, first 2 shown]
/* iter 0 (last unrolled loop) */

/*  grEndMfmaIndex:0, lwStartMfmaIndex:17, lwEndMfmaIndex:17  */
/*  numMfmaForLR:5, barrierMfmaIndex:18, LocalWritePerMfma:0.500 */
/*  mfmaIndex:0  */
s_waitcnt lgkmcnt(0)                               // lgkmcnt=0 vmcnt=-1wait for prior local read local write old=0, new=0 newLW=0 newLR=0
/* pack scheduling: packAIdx:2, packBIdx:2 */
v_or_b32 v[vgprValuA_X0_I0+0], v[vgprValuA_X0_I0+0], v[vgprValuA_X0_I0_D1+0] // pack two half Vgpr to one Vgpr
v_or_b32 v[vgprValuA_X0_I0+1], v[vgprValuA_X0_I0+1], v[vgprValuA_X0_I0_D1+1] // pack two half Vgpr to one Vgpr
v_perm_b32 v[vgprValuB_X0_I0+0], v[vgprValuB_X0_I0_D1+0], v[vgprValuB_X0_I0_D0+0], s[sgprPackKForV0] // select K=01 for vector=0
v_perm_b32 v[vgprValuB_X0_I0+1], v[vgprValuB_X0_I0_D3+0], v[vgprValuB_X0_I0_D2+0], s[sgprPackKForV0] // select K=23 for vector=0
v_or_b32 v[vgprValuA_X0_I0+2], v[vgprValuA_X0_I0+2], v[vgprValuA_X0_I0_D1+2] // pack two half Vgpr to one Vgpr
v_or_b32 v[vgprValuA_X0_I0+3], v[vgprValuA_X0_I0+3], v[vgprValuA_X0_I0_D1+3] // pack two half Vgpr to one Vgpr
v_mfma_f32_32x32x8_f16 v[0+0:15+0], v[vgprValuA_X0_I0+0+0+0:vgprValuA_X0_I0+0+0+0+1], v[vgprValuB_X0_I0+0+0+0:vgprValuB_X0_I0+0+0+0+1], v[0:15]
/*  mfmaIndex:1  */
_ds_load_u16 v[vgprValuA_X1_I0+0], v[vgprLocalReadAddrA] offset:3072 // L -> Reg lro=1536 swapByteOffset=0 ti=64 vIdx=0 rIdx=0 oIdx=0 buffer=1 iui=0
_ds_load_u16_d16_hi v[vgprValuA_X1_I0_D1+0], v[vgprLocalReadAddrA] offset:3456 // L -> Reg lro=1536 swapByteOffset=0 ti=64 vIdx=0 rIdx=1 oIdx=0 buffer=1 iui=0
_ds_load_u16 v[vgprValuA_X1_I0+1], v[vgprLocalReadAddrA] offset:3840 // L -> Reg lro=1536 swapByteOffset=0 ti=64 vIdx=0 rIdx=2 oIdx=0 buffer=1 iui=0
_ds_load_u16_d16_hi v[vgprValuA_X1_I0_D1+1], v[vgprLocalReadAddrA] offset:4224 // L -> Reg lro=1536 swapByteOffset=0 ti=64 vIdx=0 rIdx=3 oIdx=0 buffer=1 iui=0
/* pack scheduling: packAIdx:4, packBIdx:2 */
v_or_b32 v[vgprValuA_X0_I0+4], v[vgprValuA_X0_I0+4], v[vgprValuA_X0_I0_D1+4] // pack two half Vgpr to one Vgpr
v_or_b32 v[vgprValuA_X0_I0+5], v[vgprValuA_X0_I0+5], v[vgprValuA_X0_I0_D1+5] // pack two half Vgpr to one Vgpr
v_perm_b32 v[vgprValuB_X0_I0+2], v[vgprValuB_X0_I0_D1+0], v[vgprValuB_X0_I0_D0+0], s[sgprPackKForV1] // select K=01 for vector=1
v_perm_b32 v[vgprValuB_X0_I0+3], v[vgprValuB_X0_I0_D3+0], v[vgprValuB_X0_I0_D2+0], s[sgprPackKForV1] // select K=23 for vector=1
v_mfma_f32_32x32x8_f16 v[16+0:31+0], v[vgprValuA_X0_I0+2+0+0:vgprValuA_X0_I0+2+0+0+1], v[vgprValuB_X0_I0+0+0+0:vgprValuB_X0_I0+0+0+0+1], v[16:31]
/*  mfmaIndex:2  */
_ds_load_b32 v[vgprValuB_X1_I0_D0+0], v[vgprLocalReadAddrB] offset:2048 // L -> Reg lro=1024 swapByteOffset=0 ti=128 vIdx=0 rIdx=0 oIdx=0 buffer=1 iui=0
_ds_load_b32 v[vgprValuB_X1_I0_D1+0], v[vgprLocalReadAddrB] offset:2304 // L -> Reg lro=1024 swapByteOffset=0 ti=128 vIdx=0 rIdx=1 oIdx=0 buffer=1 iui=0
_ds_load_b32 v[vgprValuB_X1_I0_D2+0], v[vgprLocalReadAddrB] offset:2560 // L -> Reg lro=1024 swapByteOffset=0 ti=128 vIdx=0 rIdx=2 oIdx=0 buffer=1 iui=0
v_mfma_f32_32x32x8_f16 v[32+0:47+0], v[vgprValuA_X0_I0+4+0+0:vgprValuA_X0_I0+4+0+0+1], v[vgprValuB_X0_I0+0+0+0:vgprValuB_X0_I0+0+0+0+1], v[32:47]
/*  mfmaIndex:3  */
_ds_load_b32 v[vgprValuB_X1_I0_D3+0], v[vgprLocalReadAddrB] offset:2816 // L -> Reg lro=1024 swapByteOffset=0 ti=128 vIdx=0 rIdx=3 oIdx=0 buffer=1 iui=0
_ds_load_u16 v[vgprValuA_X1_I0+2], v[vgprLocalReadAddrA] offset:3200 // L -> Reg lro=1536 swapByteOffset=0 ti=64 vIdx=1 rIdx=0 oIdx=0 buffer=1 iui=0
_ds_load_u16_d16_hi v[vgprValuA_X1_I0_D1+2], v[vgprLocalReadAddrA] offset:3584 // L -> Reg lro=1536 swapByteOffset=0 ti=64 vIdx=1 rIdx=1 oIdx=0 buffer=1 iui=0
v_mfma_f32_32x32x8_f16 v[80+0:95+0], v[vgprValuA_X0_I0+4+0+0:vgprValuA_X0_I0+4+0+0+1], v[vgprValuB_X0_I0+2+0+0:vgprValuB_X0_I0+2+0+0+1], v[80:95]
/*  mfmaIndex:4  */
_ds_load_u16 v[vgprValuA_X1_I0+3], v[vgprLocalReadAddrA] offset:3968 // L -> Reg lro=1536 swapByteOffset=0 ti=64 vIdx=1 rIdx=2 oIdx=0 buffer=1 iui=0
_ds_load_u16_d16_hi v[vgprValuA_X1_I0_D1+3], v[vgprLocalReadAddrA] offset:4352 // L -> Reg lro=1536 swapByteOffset=0 ti=64 vIdx=1 rIdx=3 oIdx=0 buffer=1 iui=0
_ds_load_u16 v[vgprValuA_X1_I0+4], v[vgprLocalReadAddrA] offset:3328 // L -> Reg lro=1536 swapByteOffset=0 ti=64 vIdx=2 rIdx=0 oIdx=0 buffer=1 iui=0
v_mfma_f32_32x32x8_f16 v[64+0:79+0], v[vgprValuA_X0_I0+2+0+0:vgprValuA_X0_I0+2+0+0+1], v[vgprValuB_X0_I0+2+0+0:vgprValuB_X0_I0+2+0+0+1], v[64:79]
/*  mfmaIndex:5  */
_ds_load_u16_d16_hi v[vgprValuA_X1_I0_D1+4], v[vgprLocalReadAddrA] offset:3712 // L -> Reg lro=1536 swapByteOffset=0 ti=64 vIdx=2 rIdx=1 oIdx=0 buffer=1 iui=0
_ds_load_u16 v[vgprValuA_X1_I0+5], v[vgprLocalReadAddrA] offset:4096 // L -> Reg lro=1536 swapByteOffset=0 ti=64 vIdx=2 rIdx=2 oIdx=0 buffer=1 iui=0
_ds_load_u16_d16_hi v[vgprValuA_X1_I0_D1+5], v[vgprLocalReadAddrA] offset:4480 // L -> Reg lro=1536 swapByteOffset=0 ti=64 vIdx=2 rIdx=3 oIdx=0 buffer=1 iui=0
v_mfma_f32_32x32x8_f16 v[48+0:63+0], v[vgprValuA_X0_I0+0+0+0:vgprValuA_X0_I0+0+0+0+1], v[vgprValuB_X0_I0+2+0+0:vgprValuB_X0_I0+2+0+0+1], v[48:63]
/* numPrefetchIter=0 */
/* dataAtIterA=-1 numReadsIterA=1 skipReadsIterA=1 readsPerIterA=12 */
/* dataAtIterB=-1 numReadsIterB=1 skipReadsIterB=1 readsPerIterB=4 */


/* iter 1 (last unrolled loop) */

/*  grEndMfmaIndex:0, lwStartMfmaIndex:17, lwEndMfmaIndex:17  */
/*  numMfmaForLR:5, barrierMfmaIndex:18, LocalWritePerMfma:0.500 */
/*  mfmaIndex:6  */
_ds_load_u16 v[vgprValuA_X2_I0+0], v[vgprLocalReadAddrA] offset:6144 // L -> Reg lro=3072 swapByteOffset=0 ti=64 vIdx=0 rIdx=0 oIdx=0 buffer=2 iui=0
_ds_load_u16_d16_hi v[vgprValuA_X2_I0_D1+0], v[vgprLocalReadAddrA] offset:6528 // L -> Reg lro=3072 swapByteOffset=0 ti=64 vIdx=0 rIdx=1 oIdx=0 buffer=2 iui=0
_ds_load_u16 v[vgprValuA_X2_I0+1], v[vgprLocalReadAddrA] offset:6912 // L -> Reg lro=3072 swapByteOffset=0 ti=64 vIdx=0 rIdx=2 oIdx=0 buffer=2 iui=0
s_waitcnt lgkmcnt(3)                               // lgkmcnt=0 vmcnt=-1wait for prior local read local write old=0, new=3 newLW=0 newLR=3
/* pack scheduling: packAIdx:2, packBIdx:2 */
v_or_b32 v[vgprValuA_X1_I0+0], v[vgprValuA_X1_I0+0], v[vgprValuA_X1_I0_D1+0] // pack two half Vgpr to one Vgpr
v_or_b32 v[vgprValuA_X1_I0+1], v[vgprValuA_X1_I0+1], v[vgprValuA_X1_I0_D1+1] // pack two half Vgpr to one Vgpr
v_perm_b32 v[vgprValuB_X1_I0+0], v[vgprValuB_X1_I0_D1+0], v[vgprValuB_X1_I0_D0+0], s[sgprPackKForV0] // select K=01 for vector=0
v_perm_b32 v[vgprValuB_X1_I0+1], v[vgprValuB_X1_I0_D3+0], v[vgprValuB_X1_I0_D2+0], s[sgprPackKForV0] // select K=23 for vector=0
v_or_b32 v[vgprValuA_X1_I0+2], v[vgprValuA_X1_I0+2], v[vgprValuA_X1_I0_D1+2] // pack two half Vgpr to one Vgpr
v_or_b32 v[vgprValuA_X1_I0+3], v[vgprValuA_X1_I0+3], v[vgprValuA_X1_I0_D1+3] // pack two half Vgpr to one Vgpr
v_mfma_f32_32x32x8_f16 v[0+0:15+0], v[vgprValuA_X1_I0+0+0+0:vgprValuA_X1_I0+0+0+0+1], v[vgprValuB_X1_I0+0+0+0:vgprValuB_X1_I0+0+0+0+1], v[0:15]
/*  mfmaIndex:7  */
_ds_load_u16_d16_hi v[vgprValuA_X2_I0_D1+1], v[vgprLocalReadAddrA] offset:7296 // L -> Reg lro=3072 swapByteOffset=0 ti=64 vIdx=0 rIdx=3 oIdx=0 buffer=2 iui=0
_ds_load_b32 v[vgprValuB_X2_I0_D0+0], v[vgprLocalReadAddrB] offset:4096 // L -> Reg lro=2048 swapByteOffset=0 ti=128 vIdx=0 rIdx=0 oIdx=0 buffer=2 iui=0
_ds_load_b32 v[vgprValuB_X2_I0_D1+0], v[vgprLocalReadAddrB] offset:4352 // L -> Reg lro=2048 swapByteOffset=0 ti=128 vIdx=0 rIdx=1 oIdx=0 buffer=2 iui=0
/* pack scheduling: packAIdx:4, packBIdx:2 */
v_or_b32 v[vgprValuA_X1_I0+4], v[vgprValuA_X1_I0+4], v[vgprValuA_X1_I0_D1+4] // pack two half Vgpr to one Vgpr
v_or_b32 v[vgprValuA_X1_I0+5], v[vgprValuA_X1_I0+5], v[vgprValuA_X1_I0_D1+5] // pack two half Vgpr to one Vgpr
v_perm_b32 v[vgprValuB_X1_I0+2], v[vgprValuB_X1_I0_D1+0], v[vgprValuB_X1_I0_D0+0], s[sgprPackKForV1] // select K=01 for vector=1
v_perm_b32 v[vgprValuB_X1_I0+3], v[vgprValuB_X1_I0_D3+0], v[vgprValuB_X1_I0_D2+0], s[sgprPackKForV1] // select K=23 for vector=1
v_mfma_f32_32x32x8_f16 v[16+0:31+0], v[vgprValuA_X1_I0+2+0+0:vgprValuA_X1_I0+2+0+0+1], v[vgprValuB_X1_I0+0+0+0:vgprValuB_X1_I0+0+0+0+1], v[16:31]
/*  mfmaIndex:8  */
_ds_load_b32 v[vgprValuB_X2_I0_D2+0], v[vgprLocalReadAddrB] offset:4608 // L -> Reg lro=2048 swapByteOffset=0 ti=128 vIdx=0 rIdx=2 oIdx=0 buffer=2 iui=0
_ds_load_b32 v[vgprValuB_X2_I0_D3+0], v[vgprLocalReadAddrB] offset:4864 // L -> Reg lro=2048 swapByteOffset=0 ti=128 vIdx=0 rIdx=3 oIdx=0 buffer=2 iui=0
_ds_load_u16 v[vgprValuA_X2_I0+2], v[vgprLocalReadAddrA] offset:6272 // L -> Reg lro=3072 swapByteOffset=0 ti=64 vIdx=1 rIdx=0 oIdx=0 buffer=2 iui=0
v_mfma_f32_32x32x8_f16 v[32+0:47+0], v[vgprValuA_X1_I0+4+0+0:vgprValuA_X1_I0+4+0+0+1], v[vgprValuB_X1_I0+0+0+0:vgprValuB_X1_I0+0+0+0+1], v[32:47]
/*  mfmaIndex:9  */
_ds_load_u16_d16_hi v[vgprValuA_X2_I0_D1+2], v[vgprLocalReadAddrA] offset:6656 // L -> Reg lro=3072 swapByteOffset=0 ti=64 vIdx=1 rIdx=1 oIdx=0 buffer=2 iui=0
_ds_load_u16 v[vgprValuA_X2_I0+3], v[vgprLocalReadAddrA] offset:7040 // L -> Reg lro=3072 swapByteOffset=0 ti=64 vIdx=1 rIdx=2 oIdx=0 buffer=2 iui=0
_ds_load_u16_d16_hi v[vgprValuA_X2_I0_D1+3], v[vgprLocalReadAddrA] offset:7424 // L -> Reg lro=3072 swapByteOffset=0 ti=64 vIdx=1 rIdx=3 oIdx=0 buffer=2 iui=0
v_mfma_f32_32x32x8_f16 v[80+0:95+0], v[vgprValuA_X1_I0+4+0+0:vgprValuA_X1_I0+4+0+0+1], v[vgprValuB_X1_I0+2+0+0:vgprValuB_X1_I0+2+0+0+1], v[80:95]
/*  mfmaIndex:10  */
_ds_load_u16 v[vgprValuA_X2_I0+4], v[vgprLocalReadAddrA] offset:6400 // L -> Reg lro=3072 swapByteOffset=0 ti=64 vIdx=2 rIdx=0 oIdx=0 buffer=2 iui=0
_ds_load_u16_d16_hi v[vgprValuA_X2_I0_D1+4], v[vgprLocalReadAddrA] offset:6784 // L -> Reg lro=3072 swapByteOffset=0 ti=64 vIdx=2 rIdx=1 oIdx=0 buffer=2 iui=0
_ds_load_u16 v[vgprValuA_X2_I0+5], v[vgprLocalReadAddrA] offset:7168 // L -> Reg lro=3072 swapByteOffset=0 ti=64 vIdx=2 rIdx=2 oIdx=0 buffer=2 iui=0
v_mfma_f32_32x32x8_f16 v[64+0:79+0], v[vgprValuA_X1_I0+2+0+0:vgprValuA_X1_I0+2+0+0+1], v[vgprValuB_X1_I0+2+0+0:vgprValuB_X1_I0+2+0+0+1], v[64:79]
/*  mfmaIndex:11  */
_ds_load_u16_d16_hi v[vgprValuA_X2_I0_D1+5], v[vgprLocalReadAddrA] offset:7552 // L -> Reg lro=3072 swapByteOffset=0 ti=64 vIdx=2 rIdx=3 oIdx=0 buffer=2 iui=0
/* localReadsVacancy: latencyLeft 4 */
_ds_load_u16 v[vgprValuA_X3_I0+0], v[vgprLocalReadAddrA] offset:9216 // L -> Reg lro=4608 swapByteOffset=0 ti=64 vIdx=0 rIdx=0 oIdx=0 buffer=3 iui=0
_ds_load_u16_d16_hi v[vgprValuA_X3_I0_D1+0], v[vgprLocalReadAddrA] offset:9600 // L -> Reg lro=4608 swapByteOffset=0 ti=64 vIdx=0 rIdx=1 oIdx=0 buffer=3 iui=0
v_mfma_f32_32x32x8_f16 v[48+0:63+0], v[vgprValuA_X1_I0+0+0+0:vgprValuA_X1_I0+0+0+0+1], v[vgprValuB_X1_I0+2+0+0:vgprValuB_X1_I0+2+0+0+1], v[48:63]
/* numPrefetchIter=0 */
/* dataAtIterA=0 numReadsIterA=2 skipReadsIterA=1 readsPerIterA=12 */
/* dataAtIterB=0 numReadsIterB=2 skipReadsIterB=1 readsPerIterB=4 */


/* iter 2 (last unrolled loop) */

/*  grEndMfmaIndex:0, lwStartMfmaIndex:17, lwEndMfmaIndex:17  */
/*  numMfmaForLR:5, barrierMfmaIndex:18, LocalWritePerMfma:0.500 */
/*  mfmaIndex:12  */
_ds_load_u16 v[vgprValuA_X3_I0+1], v[vgprLocalReadAddrA] offset:9984 // L -> Reg lro=4608 swapByteOffset=0 ti=64 vIdx=0 rIdx=2 oIdx=0 buffer=3 iui=0
_ds_load_u16_d16_hi v[vgprValuA_X3_I0_D1+1], v[vgprLocalReadAddrA] offset:10368 // L -> Reg lro=4608 swapByteOffset=0 ti=64 vIdx=0 rIdx=3 oIdx=0 buffer=3 iui=0
_ds_load_b32 v[vgprValuB_X3_I0_D0+0], v[vgprLocalReadAddrB] offset:6144 // L -> Reg lro=3072 swapByteOffset=0 ti=128 vIdx=0 rIdx=0 oIdx=0 buffer=3 iui=0
s_waitcnt lgkmcnt(5)                               // lgkmcnt=0 vmcnt=-1wait for prior local read local write old=2, new=5 newLW=0 newLR=3
/* pack scheduling: packAIdx:2, packBIdx:2 */
v_or_b32 v[vgprValuA_X2_I0+0], v[vgprValuA_X2_I0+0], v[vgprValuA_X2_I0_D1+0] // pack two half Vgpr to one Vgpr
v_or_b32 v[vgprValuA_X2_I0+1], v[vgprValuA_X2_I0+1], v[vgprValuA_X2_I0_D1+1] // pack two half Vgpr to one Vgpr
v_perm_b32 v[vgprValuB_X2_I0+0], v[vgprValuB_X2_I0_D1+0], v[vgprValuB_X2_I0_D0+0], s[sgprPackKForV0] // select K=01 for vector=0
v_perm_b32 v[vgprValuB_X2_I0+1], v[vgprValuB_X2_I0_D3+0], v[vgprValuB_X2_I0_D2+0], s[sgprPackKForV0] // select K=23 for vector=0
v_or_b32 v[vgprValuA_X2_I0+2], v[vgprValuA_X2_I0+2], v[vgprValuA_X2_I0_D1+2] // pack two half Vgpr to one Vgpr
v_or_b32 v[vgprValuA_X2_I0+3], v[vgprValuA_X2_I0+3], v[vgprValuA_X2_I0_D1+3] // pack two half Vgpr to one Vgpr
v_mfma_f32_32x32x8_f16 v[0+0:15+0], v[vgprValuA_X2_I0+0+0+0:vgprValuA_X2_I0+0+0+0+1], v[vgprValuB_X2_I0+0+0+0:vgprValuB_X2_I0+0+0+0+1], v[0:15]
/*  mfmaIndex:13  */
_ds_load_b32 v[vgprValuB_X3_I0_D1+0], v[vgprLocalReadAddrB] offset:6400 // L -> Reg lro=3072 swapByteOffset=0 ti=128 vIdx=0 rIdx=1 oIdx=0 buffer=3 iui=0
_ds_load_b32 v[vgprValuB_X3_I0_D2+0], v[vgprLocalReadAddrB] offset:6656 // L -> Reg lro=3072 swapByteOffset=0 ti=128 vIdx=0 rIdx=2 oIdx=0 buffer=3 iui=0
_ds_load_b32 v[vgprValuB_X3_I0_D3+0], v[vgprLocalReadAddrB] offset:6912 // L -> Reg lro=3072 swapByteOffset=0 ti=128 vIdx=0 rIdx=3 oIdx=0 buffer=3 iui=0
/* pack scheduling: packAIdx:4, packBIdx:2 */
v_or_b32 v[vgprValuA_X2_I0+4], v[vgprValuA_X2_I0+4], v[vgprValuA_X2_I0_D1+4] // pack two half Vgpr to one Vgpr
v_or_b32 v[vgprValuA_X2_I0+5], v[vgprValuA_X2_I0+5], v[vgprValuA_X2_I0_D1+5] // pack two half Vgpr to one Vgpr
v_perm_b32 v[vgprValuB_X2_I0+2], v[vgprValuB_X2_I0_D1+0], v[vgprValuB_X2_I0_D0+0], s[sgprPackKForV1] // select K=01 for vector=1
v_perm_b32 v[vgprValuB_X2_I0+3], v[vgprValuB_X2_I0_D3+0], v[vgprValuB_X2_I0_D2+0], s[sgprPackKForV1] // select K=23 for vector=1
v_mfma_f32_32x32x8_f16 v[16+0:31+0], v[vgprValuA_X2_I0+2+0+0:vgprValuA_X2_I0+2+0+0+1], v[vgprValuB_X2_I0+0+0+0:vgprValuB_X2_I0+0+0+0+1], v[16:31]
/*  mfmaIndex:14  */
_ds_load_u16 v[vgprValuA_X3_I0+2], v[vgprLocalReadAddrA] offset:9344 // L -> Reg lro=4608 swapByteOffset=0 ti=64 vIdx=1 rIdx=0 oIdx=0 buffer=3 iui=0
_ds_load_u16_d16_hi v[vgprValuA_X3_I0_D1+2], v[vgprLocalReadAddrA] offset:9728 // L -> Reg lro=4608 swapByteOffset=0 ti=64 vIdx=1 rIdx=1 oIdx=0 buffer=3 iui=0
_ds_load_u16 v[vgprValuA_X3_I0+3], v[vgprLocalReadAddrA] offset:10112 // L -> Reg lro=4608 swapByteOffset=0 ti=64 vIdx=1 rIdx=2 oIdx=0 buffer=3 iui=0
v_mfma_f32_32x32x8_f16 v[32+0:47+0], v[vgprValuA_X2_I0+4+0+0:vgprValuA_X2_I0+4+0+0+1], v[vgprValuB_X2_I0+0+0+0:vgprValuB_X2_I0+0+0+0+1], v[32:47]
/*  mfmaIndex:15  */
_ds_load_u16_d16_hi v[vgprValuA_X3_I0_D1+3], v[vgprLocalReadAddrA] offset:10496 // L -> Reg lro=4608 swapByteOffset=0 ti=64 vIdx=1 rIdx=3 oIdx=0 buffer=3 iui=0
_ds_load_u16 v[vgprValuA_X3_I0+4], v[vgprLocalReadAddrA] offset:9472 // L -> Reg lro=4608 swapByteOffset=0 ti=64 vIdx=2 rIdx=0 oIdx=0 buffer=3 iui=0
_ds_load_u16_d16_hi v[vgprValuA_X3_I0_D1+4], v[vgprLocalReadAddrA] offset:9856 // L -> Reg lro=4608 swapByteOffset=0 ti=64 vIdx=2 rIdx=1 oIdx=0 buffer=3 iui=0
v_mfma_f32_32x32x8_f16 v[80+0:95+0], v[vgprValuA_X2_I0+4+0+0:vgprValuA_X2_I0+4+0+0+1], v[vgprValuB_X2_I0+2+0+0:vgprValuB_X2_I0+2+0+0+1], v[80:95]
/*  mfmaIndex:16  */
_ds_load_u16 v[vgprValuA_X3_I0+5], v[vgprLocalReadAddrA] offset:10240 // L -> Reg lro=4608 swapByteOffset=0 ti=64 vIdx=2 rIdx=2 oIdx=0 buffer=3 iui=0
_ds_load_u16_d16_hi v[vgprValuA_X3_I0_D1+5], v[vgprLocalReadAddrA] offset:10624 // L -> Reg lro=4608 swapByteOffset=0 ti=64 vIdx=2 rIdx=3 oIdx=0 buffer=3 iui=0
/* localReadsVacancy: latencyLeft 2 */
v_mfma_f32_32x32x8_f16 v[64+0:79+0], v[vgprValuA_X2_I0+2+0+0:vgprValuA_X2_I0+2+0+0+1], v[vgprValuB_X2_I0+2+0+0:vgprValuB_X2_I0+2+0+0+1], v[64:79]
/*  mfmaIndex:17  */
/* localReadsVacancy: latencyLeft 6 */
v_mfma_f32_32x32x8_f16 v[48+0:63+0], v[vgprValuA_X2_I0+0+0+0:vgprValuA_X2_I0+0+0+0+1], v[vgprValuB_X2_I0+2+0+0:vgprValuB_X2_I0+2+0+0+1], v[48:63]
/* numPrefetchIter=0 */
/* dataAtIterA=1 numReadsIterA=3 skipReadsIterA=1 readsPerIterA=12 */
/* dataAtIterB=1 numReadsIterB=3 skipReadsIterB=1 readsPerIterB=4 */


/* iter 3 (last unrolled loop) */

/*  grEndMfmaIndex:0, lwStartMfmaIndex:17, lwEndMfmaIndex:17  */
/*  numMfmaForLR:5, barrierMfmaIndex:18, LocalWritePerMfma:0.500 */
/*  mfmaIndex:18  */
s_waitcnt lgkmcnt(0)                               // lgkmcnt=0 vmcnt=-1wait for prior local read local write old=0, new=0 newLW=0 newLR=0
/* pack scheduling: packAIdx:2, packBIdx:2 */
v_or_b32 v[vgprValuA_X3_I0+0], v[vgprValuA_X3_I0+0], v[vgprValuA_X3_I0_D1+0] // pack two half Vgpr to one Vgpr
v_or_b32 v[vgprValuA_X3_I0+1], v[vgprValuA_X3_I0+1], v[vgprValuA_X3_I0_D1+1] // pack two half Vgpr to one Vgpr
v_perm_b32 v[vgprValuB_X3_I0+0], v[vgprValuB_X3_I0_D1+0], v[vgprValuB_X3_I0_D0+0], s[sgprPackKForV0] // select K=01 for vector=0
v_perm_b32 v[vgprValuB_X3_I0+1], v[vgprValuB_X3_I0_D3+0], v[vgprValuB_X3_I0_D2+0], s[sgprPackKForV0] // select K=23 for vector=0
v_or_b32 v[vgprValuA_X3_I0+2], v[vgprValuA_X3_I0+2], v[vgprValuA_X3_I0_D1+2] // pack two half Vgpr to one Vgpr
v_or_b32 v[vgprValuA_X3_I0+3], v[vgprValuA_X3_I0+3], v[vgprValuA_X3_I0_D1+3] // pack two half Vgpr to one Vgpr
v_mfma_f32_32x32x8_f16 v[0+0:15+0], v[vgprValuA_X3_I0+0+0+0:vgprValuA_X3_I0+0+0+0+1], v[vgprValuB_X3_I0+0+0+0:vgprValuB_X3_I0+0+0+0+1], v[0:15]
/*  mfmaIndex:19  */
/* pack scheduling: packAIdx:4, packBIdx:2 */
v_or_b32 v[vgprValuA_X3_I0+4], v[vgprValuA_X3_I0+4], v[vgprValuA_X3_I0_D1+4] // pack two half Vgpr to one Vgpr
v_or_b32 v[vgprValuA_X3_I0+5], v[vgprValuA_X3_I0+5], v[vgprValuA_X3_I0_D1+5] // pack two half Vgpr to one Vgpr
v_perm_b32 v[vgprValuB_X3_I0+2], v[vgprValuB_X3_I0_D1+0], v[vgprValuB_X3_I0_D0+0], s[sgprPackKForV1] // select K=01 for vector=1
v_perm_b32 v[vgprValuB_X3_I0+3], v[vgprValuB_X3_I0_D3+0], v[vgprValuB_X3_I0_D2+0], s[sgprPackKForV1] // select K=23 for vector=1
v_mfma_f32_32x32x8_f16 v[16+0:31+0], v[vgprValuA_X3_I0+2+0+0:vgprValuA_X3_I0+2+0+0+1], v[vgprValuB_X3_I0+0+0+0:vgprValuB_X3_I0+0+0+0+1], v[16:31]
/*  mfmaIndex:20  */
v_mfma_f32_32x32x8_f16 v[32+0:47+0], v[vgprValuA_X3_I0+4+0+0:vgprValuA_X3_I0+4+0+0+1], v[vgprValuB_X3_I0+0+0+0:vgprValuB_X3_I0+0+0+0+1], v[32:47]
/*  mfmaIndex:21  */
	;; [unrolled: 2-line block ×4, first 2 shown]
v_mfma_f32_32x32x8_f16 v[48+0:63+0], v[vgprValuA_X3_I0+0+0+0:vgprValuA_X3_I0+0+0+0+1], v[vgprValuB_X3_I0+2+0+0:vgprValuB_X3_I0+2+0+0+1], v[48:63]
/* numPrefetchIter=0 */
/* dataAtIterA=2 numReadsIterA=3 skipReadsIterA=0 readsPerIterA=12 */
/* dataAtIterB=2 numReadsIterB=3 skipReadsIterB=0 readsPerIterB=4 */

PrefetchGlobalLastIterEnd_5:


/******************************************/
/* Tail Loop                              */
/******************************************/


/* local write reset offsets a */


v_and_b32 v[vgprLocalWriteAddrA], 0xf07fff, v[vgprLocalWriteAddrA] // reset to Red


/* local write reset offsets b */


v_and_b32 v[vgprLocalWriteAddrB], 0xf07fff, v[vgprLocalWriteAddrB] // reset to Red


//numIterL = (((sizeL % LOCAL_DEPTHU) + LOCAL_SPLITU - 1) / LOCAL_SPLITU)
s_and_b32 s[sgprLoopCounterL], 31, s[sgprSizesSum+0] // s[sgprLoopCounterL] = s[sgprSizesSum+0] % 32
s_cmp_lg_u32 s[sgprGSUSumIdx], s[sgprGSUSumIdx+1]  // gsuSumIdx == numIterPerWgRemainder
s_cmov_b32 s[sgprLoopCounterL], 0x0                // numIter=0 if gsuSumIdx!=remainder
s_cmp_eq_u32 s[sgprLoopCounterL], 0x0              // numIterL == 0
s_cbranch_scc1 SkipTailLoopL_8                     // skip to end of tail loop b/c numIter==0
s_mov_b32 s[sgprOrigLoopCounter], 0                // repurpose to count each localRead increment


/* remove stagger offsets for tail loop */

s_mov_b32 s64, 3                                   // 
s_mul_hi_u32 s63, s64, s[sgprGlobalReadIncsA+0]    // 3 * GlobalReadIncs
s_mul_i32 s62, s64, s[sgprGlobalReadIncsA+0]       // 3 * GlobalReadIncs
s_mul_hi_u32 s65, s[sgprStaggerUIter], s[sgprGlobalReadIncsA+0] // StaggerUIter * GlobalReadIncs
s_mul_i32 s64, s[sgprStaggerUIter], s[sgprGlobalReadIncsA+0] // StaggerUIter * GlobalReadIncs
s_sub_u32 s62, s62, s64                            // start offset S in bytes
s_subb_u32 s63, s63, s65                           // start offset S in bytes
s_sub_u32 s62, s62, s[sgprWrapUA]                  // S - WrapU
s_subb_u32 s63, s63, s[sgprWrapUA+1]               // S - WrapU
s_add_u32 s[sgprSrdA+0], s[sgprSrdA+0], s62        // gra SRD += inc(lower)
s_addc_u32  s[sgprSrdA+1], s[sgprSrdA+1], s63      // gra SRD += inc(upper)
s_sub_u32 s[sgprShadowLimitA+0], s[sgprShadowLimitA+0], s62 // limit -= inc)
s_subb_u32 s[sgprShadowLimitA+1], s[sgprShadowLimitA+1], s63 // limit -= inc)
s_cmp_eq_u32 s[sgprShadowLimitA+1], 0              // are we within 2^32?
s_cselect_b32 s[sgprSrdA+2], s[sgprShadowLimitA+0], BufferLimitA // Move shadow to real if we are within 2^32

s_mov_b32 s64, 3                                   // 
s_mul_hi_u32 s63, s64, s[sgprGlobalReadIncsB+0]    // 3 * GlobalReadIncs
s_mul_i32 s62, s64, s[sgprGlobalReadIncsB+0]       // 3 * GlobalReadIncs
s_mul_hi_u32 s65, s[sgprStaggerUIter], s[sgprGlobalReadIncsB+0] // StaggerUIter * GlobalReadIncs
s_mul_i32 s64, s[sgprStaggerUIter], s[sgprGlobalReadIncsB+0] // StaggerUIter * GlobalReadIncs
s_sub_u32 s62, s62, s64                            // start offset S in bytes
s_subb_u32 s63, s63, s65                           // start offset S in bytes
s_sub_u32 s62, s62, s[sgprWrapUB]                  // S - WrapU
s_subb_u32 s63, s63, s[sgprWrapUB+1]               // S - WrapU
s_add_u32 s[sgprSrdB+0], s[sgprSrdB+0], s62        // gra SRD += inc(lower)
s_addc_u32  s[sgprSrdB+1], s[sgprSrdB+1], s63      // gra SRD += inc(upper)
s_sub_u32 s[sgprShadowLimitB+0], s[sgprShadowLimitB+0], s62 // limit -= inc)
s_subb_u32 s[sgprShadowLimitB+1], s[sgprShadowLimitB+1], s63 // limit -= inc)
s_cmp_eq_u32 s[sgprShadowLimitB+1], 0              // are we within 2^32?
s_cselect_b32 s[sgprSrdB+2], s[sgprShadowLimitB+0], BufferLimitB // Move shadow to real if we are within 2^32


/* Update M0 for DTLDS */


	;; [unrolled: 1-line block ×3, first 2 shown]
/* global read a */

/* g2l=0, load component 0 */
_buffer_load_d16_b16 v[vgprG2LA+0+0], v[vgprGlobalReadOffsetA+0], s[sgprSrdA:sgprSrdA+3], 0, offen offset:0 // load one buffer value
/* g2l=0, load component 1 */
_buffer_load_d16_hi_b16 v195, v[vgprGlobalReadOffsetA+0], s[sgprSrdA:sgprSrdA+3], 0, offen offset:2 // load one buffer value
s_waitcnt vmcnt(0)
v_or_b32 v[vgprG2LA+0+0], v[vgprG2LA+0+0], v195 // HasEccHalf: pack
/* g2l=0, load component 2 */
_buffer_load_d16_b16 v[vgprG2LA+0+1], v[vgprGlobalReadOffsetA+0], s[sgprSrdA:sgprSrdA+3], 0, offen offset:4 // load one buffer value
/* g2l=0, load component 3 */
_buffer_load_d16_hi_b16 v195, v[vgprGlobalReadOffsetA+0], s[sgprSrdA:sgprSrdA+3], 0, offen offset:6 // load one buffer value
s_waitcnt vmcnt(0)
v_or_b32 v[vgprG2LA+0+1], v[vgprG2LA+0+1], v195 // HasEccHalf: pack
	;; [unrolled: 6-line block ×12, first 2 shown]


/* Update M0 for DTLDS */


	;; [unrolled: 1-line block ×3, first 2 shown]
/* global read b */

/* g2l=0, load component 0 */
_buffer_load_d16_b16 v[vgprG2LB+0+0], v[vgprGlobalReadOffsetB+0], s[sgprSrdB:sgprSrdB+3], 0, offen offset:0 // load one buffer value
/* g2l=0, load component 1 */
_buffer_load_d16_hi_b16 v195, v[vgprGlobalReadOffsetB+0], s[sgprSrdB:sgprSrdB+3], 0, offen offset:2 // load one buffer value
s_waitcnt vmcnt(0)
v_or_b32 v[vgprG2LB+0+0], v[vgprG2LB+0+0], v195 // HasEccHalf: pack
/* g2l=0, load component 2 */
_buffer_load_d16_b16 v[vgprG2LB+0+1], v[vgprGlobalReadOffsetB+0], s[sgprSrdB:sgprSrdB+3], 0, offen offset:4 // load one buffer value
/* g2l=0, load component 3 */
_buffer_load_d16_hi_b16 v195, v[vgprGlobalReadOffsetB+0], s[sgprSrdB:sgprSrdB+3], 0, offen offset:6 // load one buffer value
s_waitcnt vmcnt(0)
v_or_b32 v[vgprG2LB+0+1], v[vgprG2LB+0+1], v195 // HasEccHalf: pack
	;; [unrolled: 6-line block ×8, first 2 shown]

s_waitcnt vmcnt(0)                                 // lgkmcnt=-1 vmcnt=02wait for global read

// Skip force waitcnt0
s_barrier //


/* Done global A/B reads */




/* local write a */

_ds_store_b128 v[vgprLocalWriteAddrA], v[vgprG2LA+0:vgprG2LA+0+3] offset:0 // lwoA_0_0_0_0 = (0*LSCA) + (0*LSPA)(*MT0I+PAD) = 0
_ds_store_b128 v[vgprLocalWriteAddrA], v[vgprG2LA+4:vgprG2LA+4+3] offset:128 // lwoA_1_0_0_0 = (1*LSCA) + (0*LSPA)(*MT0I+PAD) = 128
_ds_store_b128 v[vgprLocalWriteAddrA], v[vgprG2LA+8:vgprG2LA+8+3] offset:256 // lwoA_2_0_0_0 = (2*LSCA) + (0*LSPA)(*MT0I+PAD) = 256


/* local write b */

_ds_store_b128 v[vgprLocalWriteAddrB], v[vgprG2LB+0:vgprG2LB+0+3] offset:0 // lwoB_0_0_0_0 = (0*LSCB) + (0*LSPB)(*MT1J+PAD) = 0
_ds_store_b128 v[vgprLocalWriteAddrB], v[vgprG2LB+4:vgprG2LB+4+3] offset:4096 // lwoB_0_0_1_0 = (0*LSCB) + (1*LSPB)(*MT1J+PAD) = 4096


/* Recalc local read offsets */


s_waitcnt lgkmcnt(0)                               // lgkmcnt=0 vmcnt=-15wait for local write

// Skip force waitcnt0
s_barrier //


/* local read reset offsets a */


/* localReadResetOffsets */
/* handled internally */
v_and_b32 v[vgprLocalReadAddrA], 0x7fff, v[vgprLocalReadAddrA] // reset Red,Blk -> Red


/* local read reset offsets b */


/* localReadResetOffsets */
/* handled internally */
v_and_b32 v[vgprLocalReadAddrB], 0x7fff, v[vgprLocalReadAddrB] // reset Red,Blk -> Red


/* local read init pointers a */


/* localReadInitPointers */


/* local read init pointers b */


/* localReadInitPointers */


/* tail loop: macs */

TailLoopBeginL_6:


/* local read a */

_ds_load_u16 v[vgprValuA_X0_I0+0], v[vgprLocalReadAddrA] offset:0 // L -> Reg lro=0 swapByteOffset=0 ti=64 vIdx=0 rIdx=0 oIdx=0 buffer=0 iui=0
_ds_load_u16_d16_hi v[vgprValuA_X0_I0_D1+0], v[vgprLocalReadAddrA] offset:384 // L -> Reg lro=0 swapByteOffset=0 ti=64 vIdx=0 rIdx=1 oIdx=0 buffer=0 iui=0
_ds_load_u16 v[vgprValuA_X0_I0+1], v[vgprLocalReadAddrA] offset:768 // L -> Reg lro=0 swapByteOffset=0 ti=64 vIdx=0 rIdx=2 oIdx=0 buffer=0 iui=0
_ds_load_u16_d16_hi v[vgprValuA_X0_I0_D1+1], v[vgprLocalReadAddrA] offset:1152 // L -> Reg lro=0 swapByteOffset=0 ti=64 vIdx=0 rIdx=3 oIdx=0 buffer=0 iui=0
	;; [unrolled: 2-line block ×6, first 2 shown]


/* local read b */

_ds_load_b32 v[vgprValuB_X0_I0_D0+0], v[vgprLocalReadAddrB] offset:0 // L -> Reg lro=0 swapByteOffset=0 ti=128 vIdx=0 rIdx=0 oIdx=0 buffer=0 iui=0
_ds_load_b32 v[vgprValuB_X0_I0_D1+0], v[vgprLocalReadAddrB] offset:256 // L -> Reg lro=0 swapByteOffset=0 ti=128 vIdx=0 rIdx=1 oIdx=0 buffer=0 iui=0
_ds_load_b32 v[vgprValuB_X0_I0_D2+0], v[vgprLocalReadAddrB] offset:512 // L -> Reg lro=0 swapByteOffset=0 ti=128 vIdx=0 rIdx=2 oIdx=0 buffer=0 iui=0
_ds_load_b32 v[vgprValuB_X0_I0_D3+0], v[vgprLocalReadAddrB] offset:768 // L -> Reg lro=0 swapByteOffset=0 ti=128 vIdx=0 rIdx=3 oIdx=0 buffer=0 iui=0


/* local read inc a */

s_mov_b32 s10, 0xc00                               // inc
_v_add_co_u32 v[vgprLocalReadAddrA], vcc, s10, v[vgprLocalReadAddrA] // lrA += 3072 (LSU*(MT+PAD)*bpe)


/* local read inc b */

s_mov_b32 s10, 0x800                               // inc
_v_add_co_u32 v[vgprLocalReadAddrB], vcc, s10, v[vgprLocalReadAddrB] // lrB += 2048 (LSU*(MT+PAD)*bpe)

s_waitcnt lgkmcnt(0)                               // lgkmcnt=0 vmcnt=-14wait for local read

v_or_b32 v[vgprValuA_X0_I0+0], v[vgprValuA_X0_I0+0], v[vgprValuA_X0_I0_D1+0] // pack two half Vgpr to one Vgpr
v_or_b32 v[vgprValuA_X0_I0+1], v[vgprValuA_X0_I0+1], v[vgprValuA_X0_I0_D1+1] // pack two half Vgpr to one Vgpr
	;; [unrolled: 1-line block ×6, first 2 shown]
v_perm_b32 v[vgprValuB_X0_I0+0], v[vgprValuB_X0_I0_D1+0], v[vgprValuB_X0_I0_D0+0], s[sgprPackKForV0] // select K=01 for vector=0
v_perm_b32 v[vgprValuB_X0_I0+1], v[vgprValuB_X0_I0_D3+0], v[vgprValuB_X0_I0_D2+0], s[sgprPackKForV0] // select K=23 for vector=0
v_perm_b32 v[vgprValuB_X0_I0+2], v[vgprValuB_X0_I0_D1+0], v[vgprValuB_X0_I0_D0+0], s[sgprPackKForV1] // select K=01 for vector=1
v_perm_b32 v[vgprValuB_X0_I0+3], v[vgprValuB_X0_I0_D3+0], v[vgprValuB_X0_I0_D2+0], s[sgprPackKForV1] // select K=23 for vector=1

s_nop 1
v_mfma_f32_32x32x8_f16 v[0+0:15+0], v[vgprValuA_X0_I0+0+0+0:vgprValuA_X0_I0+0+0+0+1], v[vgprValuB_X0_I0+0+0+0:vgprValuB_X0_I0+0+0+0+1], v[0:15]
v_mfma_f32_32x32x8_f16 v[16+0:31+0], v[vgprValuA_X0_I0+2+0+0:vgprValuA_X0_I0+2+0+0+1], v[vgprValuB_X0_I0+0+0+0:vgprValuB_X0_I0+0+0+0+1], v[16:31]
	;; [unrolled: 1-line block ×6, first 2 shown]


/* closeLoop loopL finalLoop=1 tailLoop=1 */
s_sub_i32 s[sgprLoopCounterL], s[sgprLoopCounterL], 0x8 // dec counterL (tailLoop)
s_add_u32 s[sgprOrigLoopCounter], s[sgprOrigLoopCounter], 0x8 // inc counterL
s_cmp_le_i32 s[sgprLoopCounterL], 0x0              // counterL<=0
s_cbranch_scc0 TailLoopBeginL_6                    // restart LoopL
TailLoopEndL_7:

SkipTailLoopL_8:

Summation_End_19:
/* endSummation: add vgpr [96...192) to pool */
.set NumFullBlocks, UNDEF
.set WgmRemainder1, UNDEF
.set MagicNumberWgmRemainder1, UNDEF
.set PackKForV0, UNDEF
.set PackKForV1, UNDEF

/* Mapping of Acc register -> C Vgpr register */

/* Rearrange MI out register -> C Vgpr register */


/* shift vector components d0 */

v_mov_b32 v97, s[sgprWorkGroup0]                   // 
v_mul_i32_i24 v97, -0xc0, v97                      // wg*MT
_v_add_co_u32 v97, vcc, s[sgprSizesFree+0], v97    // wgMT = Size - wg*MT
v_mov_b32 v98, 0xc0                                // MT
v_min_u32 v97, v98, v97                            // wgMT = (wgMT < MT) ? wgMT : MT
v_lshrrev_b32 v96, 6, v[vgprSerial]                // v96 = v[vgprSerial] / 64
v_and_b32 v99, 1, v96                              // v99 = v96 % 2
v_lshrrev_b32 v96, 5, v97                          // v96 = v97 / 32
v_and_b32 v100, 1, v96                             // v100 = v96 % 2
v_cmp_eq_u32 s[10:11], v100, v99                   // wave_id == block_belong_to_wave?
v_cndmask_b32 v97, v98, v97, s[10:11]              // wgMT = (wgMT < MT) ? wgMT : MT

/* mbReg: which mb block need to shift, mb(matrixInstCoal(32) * VectorWidth(1)) */
v_lshrrev_b32 v98, 3, v97                          // v98 = v97 / 8
v_lshlrev_b32 v100, 0x2, v99                       // v100 = v99 * 4
_v_sub_u32 v98, v98, v100                          // 

/* gbReg: glvw block id */
v_lshrrev_b32 v100, 3, v97                         // v100 = v97 / 8

/* tgbReg: glvw block id */
v_lshrrev_b32 v96, 5, v[vgprSerial]                // v96 = v[vgprSerial] / 32
v_and_b32 v101, 1, v96                             // v101 = v96 % 2
v_lshlrev_b32 v101, 0x2, v101                      // v101 = v101 * 4
v_lshrrev_b32 v101, 3, v101                        // v101 = v101 / 8
v_lshlrev_b32 v99, 0x2, v99                        // v99 = v99 * 4
_v_add_co_u32 v101, vcc, v99, v101                 // tgbReg = (tid_coal * continOut) / GLVW
_v_sub_u32 v100, v100, v101                        // 

/* vwReg: glvw in which vw block? */
v_and_b32 v99, 3, v97                              // permute register between threads
v_lshrrev_b32 v99, 3, v99                          // permute register between threads

/* rReg : reminder of M_size % GlobalLoadVectorWidth */
v_and_b32 v101, 7, v97                             // v101 = v97 % 8
v_cmp_eq_u32 vcc, v101, 0x1                        // wgMT%VW == 1
s_cbranch_vccnz label_0020                         // branch to shift d0 r=1
v_cmp_eq_u32 vcc, v101, 0x2                        // wgMT%VW == 2
s_cbranch_vccnz label_0045                         // branch to shift d0 r=2
v_cmp_eq_u32 vcc, v101, 0x3                        // wgMT%VW == 3
s_cbranch_vccnz label_0070                         // branch to shift d0 r=3
v_cmp_eq_u32 vcc, v101, 0x4                        // wgMT%VW == 4
s_cbranch_vccnz label_0095                         // branch to shift d0 r=4
v_cmp_eq_u32 vcc, v101, 0x5                        // wgMT%VW == 5
s_cbranch_vccnz label_0120                         // branch to shift d0 r=5
v_cmp_eq_u32 vcc, v101, 0x6                        // wgMT%VW == 6
s_cbranch_vccnz label_0145                         // branch to shift d0 r=6
v_cmp_eq_u32 vcc, v101, 0x7                        // wgMT%VW == 7
s_cbranch_vccnz label_0170                         // branch to shift d0 r=7
s_branch label_0195                                // no shifting

/******************************************/
/* shift d0 r=1                           */
/******************************************/
label_0020:
v_cmp_eq_u32 vcc, v98, 0x0                         // 
s_cbranch_vccnz label_0021                         // branch to shift d0 r1 mb0
v_cmp_eq_u32 vcc, v98, 0x1                         // 
s_cbranch_vccnz label_0023                         // branch to shift d0 r1 mb1
v_cmp_eq_u32 vcc, v98, 0x2                         // 
s_cbranch_vccnz label_0025                         // branch to shift d0 r1 mb2
v_cmp_eq_u32 vcc, v98, 0x3                         // 
s_cbranch_vccnz label_0027                         // branch to shift d0 r1 mb3
v_cmp_eq_u32 vcc, v98, 0x8                         // 
s_cbranch_vccnz label_0029                         // branch to shift d0 r1 mb4
v_cmp_eq_u32 vcc, v98, 0x9                         // 
s_cbranch_vccnz label_0031                         // branch to shift d0 r1 mb5
v_cmp_eq_u32 vcc, v98, 0xa                         // 
s_cbranch_vccnz label_0033                         // branch to shift d0 r1 mb6
v_cmp_eq_u32 vcc, v98, 0xb                         // 
s_cbranch_vccnz label_0035                         // branch to shift d0 r1 mb7
v_cmp_eq_u32 vcc, v98, 0x10                        // 
s_cbranch_vccnz label_0037                         // branch to shift d0 r1 mb8
v_cmp_eq_u32 vcc, v98, 0x11                        // 
s_cbranch_vccnz label_0039                         // branch to shift d0 r1 mb9
v_cmp_eq_u32 vcc, v98, 0x12                        // 
s_cbranch_vccnz label_0041                         // branch to shift d0 r1 mb10
v_cmp_eq_u32 vcc, v98, 0x13                        // 
s_cbranch_vccnz label_0043                         // branch to shift d0 r1 mb11

/******************************************/
/* shift d0 r=2                           */
/******************************************/
label_0045:
v_cmp_eq_u32 vcc, v98, 0x0                         // 
s_cbranch_vccnz label_0046                         // branch to shift d0 r2 mb0
v_cmp_eq_u32 vcc, v98, 0x1                         // 
s_cbranch_vccnz label_0048                         // branch to shift d0 r2 mb1
v_cmp_eq_u32 vcc, v98, 0x2                         // 
s_cbranch_vccnz label_0050                         // branch to shift d0 r2 mb2
v_cmp_eq_u32 vcc, v98, 0x3                         // 
s_cbranch_vccnz label_0052                         // branch to shift d0 r2 mb3
v_cmp_eq_u32 vcc, v98, 0x8                         // 
s_cbranch_vccnz label_0054                         // branch to shift d0 r2 mb4
v_cmp_eq_u32 vcc, v98, 0x9                         // 
s_cbranch_vccnz label_0056                         // branch to shift d0 r2 mb5
v_cmp_eq_u32 vcc, v98, 0xa                         // 
s_cbranch_vccnz label_0058                         // branch to shift d0 r2 mb6
v_cmp_eq_u32 vcc, v98, 0xb                         // 
s_cbranch_vccnz label_0060                         // branch to shift d0 r2 mb7
v_cmp_eq_u32 vcc, v98, 0x10                        // 
s_cbranch_vccnz label_0062                         // branch to shift d0 r2 mb8
v_cmp_eq_u32 vcc, v98, 0x11                        // 
s_cbranch_vccnz label_0064                         // branch to shift d0 r2 mb9
v_cmp_eq_u32 vcc, v98, 0x12                        // 
s_cbranch_vccnz label_0066                         // branch to shift d0 r2 mb10
v_cmp_eq_u32 vcc, v98, 0x13                        // 
s_cbranch_vccnz label_0068                         // branch to shift d0 r2 mb11

/******************************************/
/* shift d0 r=3                           */
/******************************************/
label_0070:
v_cmp_eq_u32 vcc, v98, 0x0                         // 
s_cbranch_vccnz label_0071                         // branch to shift d0 r3 mb0
v_cmp_eq_u32 vcc, v98, 0x1                         // 
s_cbranch_vccnz label_0073                         // branch to shift d0 r3 mb1
v_cmp_eq_u32 vcc, v98, 0x2                         // 
s_cbranch_vccnz label_0075                         // branch to shift d0 r3 mb2
v_cmp_eq_u32 vcc, v98, 0x3                         // 
s_cbranch_vccnz label_0077                         // branch to shift d0 r3 mb3
v_cmp_eq_u32 vcc, v98, 0x8                         // 
s_cbranch_vccnz label_0079                         // branch to shift d0 r3 mb4
v_cmp_eq_u32 vcc, v98, 0x9                         // 
s_cbranch_vccnz label_0081                         // branch to shift d0 r3 mb5
v_cmp_eq_u32 vcc, v98, 0xa                         // 
s_cbranch_vccnz label_0083                         // branch to shift d0 r3 mb6
v_cmp_eq_u32 vcc, v98, 0xb                         // 
s_cbranch_vccnz label_0085                         // branch to shift d0 r3 mb7
v_cmp_eq_u32 vcc, v98, 0x10                        // 
s_cbranch_vccnz label_0087                         // branch to shift d0 r3 mb8
v_cmp_eq_u32 vcc, v98, 0x11                        // 
s_cbranch_vccnz label_0089                         // branch to shift d0 r3 mb9
v_cmp_eq_u32 vcc, v98, 0x12                        // 
s_cbranch_vccnz label_0091                         // branch to shift d0 r3 mb10
v_cmp_eq_u32 vcc, v98, 0x13                        // 
s_cbranch_vccnz label_0093                         // branch to shift d0 r3 mb11

/******************************************/
/* shift d0 r=4                           */
/******************************************/
label_0095:
v_cmp_eq_u32 vcc, v98, 0x0                         // 
s_cbranch_vccnz label_0096                         // branch to shift d0 r4 mb0
v_cmp_eq_u32 vcc, v98, 0x1                         // 
s_cbranch_vccnz label_0098                         // branch to shift d0 r4 mb1
v_cmp_eq_u32 vcc, v98, 0x2                         // 
s_cbranch_vccnz label_0100                         // branch to shift d0 r4 mb2
v_cmp_eq_u32 vcc, v98, 0x3                         // 
s_cbranch_vccnz label_0102                         // branch to shift d0 r4 mb3
v_cmp_eq_u32 vcc, v98, 0x8                         // 
s_cbranch_vccnz label_0104                         // branch to shift d0 r4 mb4
v_cmp_eq_u32 vcc, v98, 0x9                         // 
s_cbranch_vccnz label_0106                         // branch to shift d0 r4 mb5
v_cmp_eq_u32 vcc, v98, 0xa                         // 
s_cbranch_vccnz label_0108                         // branch to shift d0 r4 mb6
v_cmp_eq_u32 vcc, v98, 0xb                         // 
s_cbranch_vccnz label_0110                         // branch to shift d0 r4 mb7
v_cmp_eq_u32 vcc, v98, 0x10                        // 
s_cbranch_vccnz label_0112                         // branch to shift d0 r4 mb8
v_cmp_eq_u32 vcc, v98, 0x11                        // 
s_cbranch_vccnz label_0114                         // branch to shift d0 r4 mb9
v_cmp_eq_u32 vcc, v98, 0x12                        // 
s_cbranch_vccnz label_0116                         // branch to shift d0 r4 mb10
v_cmp_eq_u32 vcc, v98, 0x13                        // 
s_cbranch_vccnz label_0118                         // branch to shift d0 r4 mb11

/******************************************/
/* shift d0 r=5                           */
/******************************************/
label_0120:
v_cmp_eq_u32 vcc, v98, 0x0                         // 
s_cbranch_vccnz label_0121                         // branch to shift d0 r5 mb0
v_cmp_eq_u32 vcc, v98, 0x1                         // 
s_cbranch_vccnz label_0123                         // branch to shift d0 r5 mb1
v_cmp_eq_u32 vcc, v98, 0x2                         // 
s_cbranch_vccnz label_0125                         // branch to shift d0 r5 mb2
v_cmp_eq_u32 vcc, v98, 0x3                         // 
s_cbranch_vccnz label_0127                         // branch to shift d0 r5 mb3
v_cmp_eq_u32 vcc, v98, 0x8                         // 
s_cbranch_vccnz label_0129                         // branch to shift d0 r5 mb4
v_cmp_eq_u32 vcc, v98, 0x9                         // 
s_cbranch_vccnz label_0131                         // branch to shift d0 r5 mb5
v_cmp_eq_u32 vcc, v98, 0xa                         // 
s_cbranch_vccnz label_0133                         // branch to shift d0 r5 mb6
v_cmp_eq_u32 vcc, v98, 0xb                         // 
s_cbranch_vccnz label_0135                         // branch to shift d0 r5 mb7
v_cmp_eq_u32 vcc, v98, 0x10                        // 
s_cbranch_vccnz label_0137                         // branch to shift d0 r5 mb8
v_cmp_eq_u32 vcc, v98, 0x11                        // 
s_cbranch_vccnz label_0139                         // branch to shift d0 r5 mb9
v_cmp_eq_u32 vcc, v98, 0x12                        // 
s_cbranch_vccnz label_0141                         // branch to shift d0 r5 mb10
v_cmp_eq_u32 vcc, v98, 0x13                        // 
s_cbranch_vccnz label_0143                         // branch to shift d0 r5 mb11

/******************************************/
/* shift d0 r=6                           */
/******************************************/
label_0145:
v_cmp_eq_u32 vcc, v98, 0x0                         // 
s_cbranch_vccnz label_0146                         // branch to shift d0 r6 mb0
v_cmp_eq_u32 vcc, v98, 0x1                         // 
s_cbranch_vccnz label_0148                         // branch to shift d0 r6 mb1
v_cmp_eq_u32 vcc, v98, 0x2                         // 
s_cbranch_vccnz label_0150                         // branch to shift d0 r6 mb2
v_cmp_eq_u32 vcc, v98, 0x3                         // 
s_cbranch_vccnz label_0152                         // branch to shift d0 r6 mb3
v_cmp_eq_u32 vcc, v98, 0x8                         // 
s_cbranch_vccnz label_0154                         // branch to shift d0 r6 mb4
v_cmp_eq_u32 vcc, v98, 0x9                         // 
s_cbranch_vccnz label_0156                         // branch to shift d0 r6 mb5
v_cmp_eq_u32 vcc, v98, 0xa                         // 
s_cbranch_vccnz label_0158                         // branch to shift d0 r6 mb6
v_cmp_eq_u32 vcc, v98, 0xb                         // 
s_cbranch_vccnz label_0160                         // branch to shift d0 r6 mb7
v_cmp_eq_u32 vcc, v98, 0x10                        // 
s_cbranch_vccnz label_0162                         // branch to shift d0 r6 mb8
v_cmp_eq_u32 vcc, v98, 0x11                        // 
s_cbranch_vccnz label_0164                         // branch to shift d0 r6 mb9
v_cmp_eq_u32 vcc, v98, 0x12                        // 
s_cbranch_vccnz label_0166                         // branch to shift d0 r6 mb10
v_cmp_eq_u32 vcc, v98, 0x13                        // 
s_cbranch_vccnz label_0168                         // branch to shift d0 r6 mb11

/******************************************/
/* shift d0 r=7                           */
/******************************************/
label_0170:
v_cmp_eq_u32 vcc, v98, 0x0                         // 
s_cbranch_vccnz label_0171                         // branch to shift d0 r7 mb0
v_cmp_eq_u32 vcc, v98, 0x1                         // 
s_cbranch_vccnz label_0173                         // branch to shift d0 r7 mb1
v_cmp_eq_u32 vcc, v98, 0x2                         // 
s_cbranch_vccnz label_0175                         // branch to shift d0 r7 mb2
v_cmp_eq_u32 vcc, v98, 0x3                         // 
s_cbranch_vccnz label_0177                         // branch to shift d0 r7 mb3
v_cmp_eq_u32 vcc, v98, 0x8                         // 
s_cbranch_vccnz label_0179                         // branch to shift d0 r7 mb4
v_cmp_eq_u32 vcc, v98, 0x9                         // 
s_cbranch_vccnz label_0181                         // branch to shift d0 r7 mb5
v_cmp_eq_u32 vcc, v98, 0xa                         // 
s_cbranch_vccnz label_0183                         // branch to shift d0 r7 mb6
v_cmp_eq_u32 vcc, v98, 0xb                         // 
s_cbranch_vccnz label_0185                         // branch to shift d0 r7 mb7
v_cmp_eq_u32 vcc, v98, 0x10                        // 
s_cbranch_vccnz label_0187                         // branch to shift d0 r7 mb8
v_cmp_eq_u32 vcc, v98, 0x11                        // 
s_cbranch_vccnz label_0189                         // branch to shift d0 r7 mb9
v_cmp_eq_u32 vcc, v98, 0x12                        // 
s_cbranch_vccnz label_0191                         // branch to shift d0 r7 mb10
v_cmp_eq_u32 vcc, v98, 0x13                        // 
s_cbranch_vccnz label_0193                         // branch to shift d0 r7 mb11

/******************************************/
/* shift d0 r=1 mb=0                      */
/******************************************/
label_0021: // r1 mb0 
v_cmp_eq_u32 vcc, v99, 0x0                         // 
s_cbranch_vccnz label_0022                         // branch to shift d0 r1 mb0 vw0

/******************************************/
/* shift d0 r=1 mb=1                      */
/******************************************/
label_0023: // r1 mb1 
v_cmp_eq_u32 vcc, v99, 0x0                         // 
s_cbranch_vccnz label_0024                         // branch to shift d0 r1 mb1 vw0

/******************************************/
/* shift d0 r=1 mb=2                      */
/******************************************/
label_0025: // r1 mb2 
v_cmp_eq_u32 vcc, v99, 0x0                         // 
s_cbranch_vccnz label_0026                         // branch to shift d0 r1 mb2 vw0

/******************************************/
/* shift d0 r=1 mb=3                      */
/******************************************/
label_0027: // r1 mb3 
v_cmp_eq_u32 vcc, v99, 0x0                         // 
s_cbranch_vccnz label_0028                         // branch to shift d0 r1 mb3 vw0

/******************************************/
/* shift d0 r=1 mb=4                      */
/******************************************/
label_0029: // r1 mb4 
v_cmp_eq_u32 vcc, v99, 0x0                         // 
s_cbranch_vccnz label_0030                         // branch to shift d0 r1 mb4 vw0

/******************************************/
/* shift d0 r=1 mb=5                      */
/******************************************/
label_0031: // r1 mb5 
v_cmp_eq_u32 vcc, v99, 0x0                         // 
s_cbranch_vccnz label_0032                         // branch to shift d0 r1 mb5 vw0

/******************************************/
/* shift d0 r=1 mb=6                      */
/******************************************/
label_0033: // r1 mb6 
v_cmp_eq_u32 vcc, v99, 0x0                         // 
s_cbranch_vccnz label_0034                         // branch to shift d0 r1 mb6 vw0

/******************************************/
/* shift d0 r=1 mb=7                      */
/******************************************/
label_0035: // r1 mb7 
v_cmp_eq_u32 vcc, v99, 0x0                         // 
s_cbranch_vccnz label_0036                         // branch to shift d0 r1 mb7 vw0

/******************************************/
/* shift d0 r=1 mb=8                      */
/******************************************/
label_0037: // r1 mb8 
v_cmp_eq_u32 vcc, v99, 0x0                         // 
s_cbranch_vccnz label_0038                         // branch to shift d0 r1 mb8 vw0

/******************************************/
/* shift d0 r=1 mb=9                      */
/******************************************/
label_0039: // r1 mb9 
v_cmp_eq_u32 vcc, v99, 0x0                         // 
s_cbranch_vccnz label_0040                         // branch to shift d0 r1 mb9 vw0

/******************************************/
/* shift d0 r=1 mb=10                     */
/******************************************/
label_0041: // r1 mb10 
v_cmp_eq_u32 vcc, v99, 0x0                         // 
s_cbranch_vccnz label_0042                         // branch to shift d0 r1 mb10 vw0

/******************************************/
/* shift d0 r=1 mb=11                     */
/******************************************/
label_0043: // r1 mb11 
v_cmp_eq_u32 vcc, v99, 0x0                         // 
s_cbranch_vccnz label_0044                         // branch to shift d0 r1 mb11 vw0

/******************************************/
/* shift d0 r=2 mb=0                      */
/******************************************/
label_0046: // r2 mb0 
v_cmp_eq_u32 vcc, v99, 0x0                         // 
s_cbranch_vccnz label_0047                         // branch to shift d0 r2 mb0 vw0

/******************************************/
/* shift d0 r=2 mb=1                      */
/******************************************/
label_0048: // r2 mb1 
v_cmp_eq_u32 vcc, v99, 0x0                         // 
s_cbranch_vccnz label_0049                         // branch to shift d0 r2 mb1 vw0

/******************************************/
/* shift d0 r=2 mb=2                      */
/******************************************/
label_0050: // r2 mb2 
v_cmp_eq_u32 vcc, v99, 0x0                         // 
s_cbranch_vccnz label_0051                         // branch to shift d0 r2 mb2 vw0

/******************************************/
/* shift d0 r=2 mb=3                      */
/******************************************/
label_0052: // r2 mb3 
v_cmp_eq_u32 vcc, v99, 0x0                         // 
s_cbranch_vccnz label_0053                         // branch to shift d0 r2 mb3 vw0

/******************************************/
/* shift d0 r=2 mb=4                      */
/******************************************/
label_0054: // r2 mb4 
v_cmp_eq_u32 vcc, v99, 0x0                         // 
s_cbranch_vccnz label_0055                         // branch to shift d0 r2 mb4 vw0

/******************************************/
/* shift d0 r=2 mb=5                      */
/******************************************/
label_0056: // r2 mb5 
v_cmp_eq_u32 vcc, v99, 0x0                         // 
s_cbranch_vccnz label_0057                         // branch to shift d0 r2 mb5 vw0

/******************************************/
/* shift d0 r=2 mb=6                      */
/******************************************/
label_0058: // r2 mb6 
v_cmp_eq_u32 vcc, v99, 0x0                         // 
s_cbranch_vccnz label_0059                         // branch to shift d0 r2 mb6 vw0

/******************************************/
/* shift d0 r=2 mb=7                      */
/******************************************/
label_0060: // r2 mb7 
v_cmp_eq_u32 vcc, v99, 0x0                         // 
s_cbranch_vccnz label_0061                         // branch to shift d0 r2 mb7 vw0

/******************************************/
/* shift d0 r=2 mb=8                      */
/******************************************/
label_0062: // r2 mb8 
v_cmp_eq_u32 vcc, v99, 0x0                         // 
s_cbranch_vccnz label_0063                         // branch to shift d0 r2 mb8 vw0

/******************************************/
/* shift d0 r=2 mb=9                      */
/******************************************/
label_0064: // r2 mb9 
v_cmp_eq_u32 vcc, v99, 0x0                         // 
s_cbranch_vccnz label_0065                         // branch to shift d0 r2 mb9 vw0

/******************************************/
/* shift d0 r=2 mb=10                     */
/******************************************/
label_0066: // r2 mb10 
v_cmp_eq_u32 vcc, v99, 0x0                         // 
s_cbranch_vccnz label_0067                         // branch to shift d0 r2 mb10 vw0

/******************************************/
/* shift d0 r=2 mb=11                     */
/******************************************/
label_0068: // r2 mb11 
v_cmp_eq_u32 vcc, v99, 0x0                         // 
s_cbranch_vccnz label_0069                         // branch to shift d0 r2 mb11 vw0

/******************************************/
/* shift d0 r=3 mb=0                      */
/******************************************/
label_0071: // r3 mb0 
v_cmp_eq_u32 vcc, v99, 0x0                         // 
s_cbranch_vccnz label_0072                         // branch to shift d0 r3 mb0 vw0

/******************************************/
/* shift d0 r=3 mb=1                      */
/******************************************/
label_0073: // r3 mb1 
v_cmp_eq_u32 vcc, v99, 0x0                         // 
s_cbranch_vccnz label_0074                         // branch to shift d0 r3 mb1 vw0

/******************************************/
/* shift d0 r=3 mb=2                      */
/******************************************/
label_0075: // r3 mb2 
v_cmp_eq_u32 vcc, v99, 0x0                         // 
s_cbranch_vccnz label_0076                         // branch to shift d0 r3 mb2 vw0

/******************************************/
/* shift d0 r=3 mb=3                      */
/******************************************/
label_0077: // r3 mb3 
v_cmp_eq_u32 vcc, v99, 0x0                         // 
s_cbranch_vccnz label_0078                         // branch to shift d0 r3 mb3 vw0

/******************************************/
/* shift d0 r=3 mb=4                      */
/******************************************/
label_0079: // r3 mb4 
v_cmp_eq_u32 vcc, v99, 0x0                         // 
s_cbranch_vccnz label_0080                         // branch to shift d0 r3 mb4 vw0

/******************************************/
/* shift d0 r=3 mb=5                      */
/******************************************/
label_0081: // r3 mb5 
v_cmp_eq_u32 vcc, v99, 0x0                         // 
s_cbranch_vccnz label_0082                         // branch to shift d0 r3 mb5 vw0

/******************************************/
/* shift d0 r=3 mb=6                      */
/******************************************/
label_0083: // r3 mb6 
v_cmp_eq_u32 vcc, v99, 0x0                         // 
s_cbranch_vccnz label_0084                         // branch to shift d0 r3 mb6 vw0

/******************************************/
/* shift d0 r=3 mb=7                      */
/******************************************/
label_0085: // r3 mb7 
v_cmp_eq_u32 vcc, v99, 0x0                         // 
s_cbranch_vccnz label_0086                         // branch to shift d0 r3 mb7 vw0

/******************************************/
/* shift d0 r=3 mb=8                      */
/******************************************/
label_0087: // r3 mb8 
v_cmp_eq_u32 vcc, v99, 0x0                         // 
s_cbranch_vccnz label_0088                         // branch to shift d0 r3 mb8 vw0

/******************************************/
/* shift d0 r=3 mb=9                      */
/******************************************/
label_0089: // r3 mb9 
v_cmp_eq_u32 vcc, v99, 0x0                         // 
s_cbranch_vccnz label_0090                         // branch to shift d0 r3 mb9 vw0

/******************************************/
/* shift d0 r=3 mb=10                     */
/******************************************/
label_0091: // r3 mb10 
v_cmp_eq_u32 vcc, v99, 0x0                         // 
s_cbranch_vccnz label_0092                         // branch to shift d0 r3 mb10 vw0

/******************************************/
/* shift d0 r=3 mb=11                     */
/******************************************/
label_0093: // r3 mb11 
v_cmp_eq_u32 vcc, v99, 0x0                         // 
s_cbranch_vccnz label_0094                         // branch to shift d0 r3 mb11 vw0

/******************************************/
/* shift d0 r=4 mb=0                      */
/******************************************/
label_0096: // r4 mb0 
v_cmp_eq_u32 vcc, v99, 0x0                         // 
s_cbranch_vccnz label_0097                         // branch to shift d0 r4 mb0 vw0

/******************************************/
/* shift d0 r=4 mb=1                      */
/******************************************/
label_0098: // r4 mb1 
v_cmp_eq_u32 vcc, v99, 0x0                         // 
s_cbranch_vccnz label_0099                         // branch to shift d0 r4 mb1 vw0

/******************************************/
/* shift d0 r=4 mb=2                      */
/******************************************/
label_0100: // r4 mb2 
v_cmp_eq_u32 vcc, v99, 0x0                         // 
s_cbranch_vccnz label_0101                         // branch to shift d0 r4 mb2 vw0

/******************************************/
/* shift d0 r=4 mb=3                      */
/******************************************/
label_0102: // r4 mb3 
v_cmp_eq_u32 vcc, v99, 0x0                         // 
s_cbranch_vccnz label_0103                         // branch to shift d0 r4 mb3 vw0

/******************************************/
/* shift d0 r=4 mb=4                      */
/******************************************/
label_0104: // r4 mb4 
v_cmp_eq_u32 vcc, v99, 0x0                         // 
s_cbranch_vccnz label_0105                         // branch to shift d0 r4 mb4 vw0

/******************************************/
/* shift d0 r=4 mb=5                      */
/******************************************/
label_0106: // r4 mb5 
v_cmp_eq_u32 vcc, v99, 0x0                         // 
s_cbranch_vccnz label_0107                         // branch to shift d0 r4 mb5 vw0

/******************************************/
/* shift d0 r=4 mb=6                      */
/******************************************/
label_0108: // r4 mb6 
v_cmp_eq_u32 vcc, v99, 0x0                         // 
s_cbranch_vccnz label_0109                         // branch to shift d0 r4 mb6 vw0

/******************************************/
/* shift d0 r=4 mb=7                      */
/******************************************/
label_0110: // r4 mb7 
v_cmp_eq_u32 vcc, v99, 0x0                         // 
s_cbranch_vccnz label_0111                         // branch to shift d0 r4 mb7 vw0

/******************************************/
/* shift d0 r=4 mb=8                      */
/******************************************/
label_0112: // r4 mb8 
v_cmp_eq_u32 vcc, v99, 0x0                         // 
s_cbranch_vccnz label_0113                         // branch to shift d0 r4 mb8 vw0

/******************************************/
/* shift d0 r=4 mb=9                      */
/******************************************/
label_0114: // r4 mb9 
v_cmp_eq_u32 vcc, v99, 0x0                         // 
s_cbranch_vccnz label_0115                         // branch to shift d0 r4 mb9 vw0

/******************************************/
/* shift d0 r=4 mb=10                     */
/******************************************/
label_0116: // r4 mb10 
v_cmp_eq_u32 vcc, v99, 0x0                         // 
s_cbranch_vccnz label_0117                         // branch to shift d0 r4 mb10 vw0

/******************************************/
/* shift d0 r=4 mb=11                     */
/******************************************/
label_0118: // r4 mb11 
v_cmp_eq_u32 vcc, v99, 0x0                         // 
s_cbranch_vccnz label_0119                         // branch to shift d0 r4 mb11 vw0

/******************************************/
/* shift d0 r=5 mb=0                      */
/******************************************/
label_0121: // r5 mb0 
v_cmp_eq_u32 vcc, v99, 0x0                         // 
s_cbranch_vccnz label_0122                         // branch to shift d0 r5 mb0 vw0

/******************************************/
/* shift d0 r=5 mb=1                      */
/******************************************/
label_0123: // r5 mb1 
v_cmp_eq_u32 vcc, v99, 0x0                         // 
s_cbranch_vccnz label_0124                         // branch to shift d0 r5 mb1 vw0

/******************************************/
/* shift d0 r=5 mb=2                      */
/******************************************/
label_0125: // r5 mb2 
v_cmp_eq_u32 vcc, v99, 0x0                         // 
s_cbranch_vccnz label_0126                         // branch to shift d0 r5 mb2 vw0

/******************************************/
/* shift d0 r=5 mb=3                      */
/******************************************/
label_0127: // r5 mb3 
v_cmp_eq_u32 vcc, v99, 0x0                         // 
s_cbranch_vccnz label_0128                         // branch to shift d0 r5 mb3 vw0

/******************************************/
/* shift d0 r=5 mb=4                      */
/******************************************/
label_0129: // r5 mb4 
v_cmp_eq_u32 vcc, v99, 0x0                         // 
s_cbranch_vccnz label_0130                         // branch to shift d0 r5 mb4 vw0

/******************************************/
/* shift d0 r=5 mb=5                      */
/******************************************/
label_0131: // r5 mb5 
v_cmp_eq_u32 vcc, v99, 0x0                         // 
s_cbranch_vccnz label_0132                         // branch to shift d0 r5 mb5 vw0

/******************************************/
/* shift d0 r=5 mb=6                      */
/******************************************/
label_0133: // r5 mb6 
v_cmp_eq_u32 vcc, v99, 0x0                         // 
s_cbranch_vccnz label_0134                         // branch to shift d0 r5 mb6 vw0

/******************************************/
/* shift d0 r=5 mb=7                      */
/******************************************/
label_0135: // r5 mb7 
v_cmp_eq_u32 vcc, v99, 0x0                         // 
s_cbranch_vccnz label_0136                         // branch to shift d0 r5 mb7 vw0

/******************************************/
/* shift d0 r=5 mb=8                      */
/******************************************/
label_0137: // r5 mb8 
v_cmp_eq_u32 vcc, v99, 0x0                         // 
s_cbranch_vccnz label_0138                         // branch to shift d0 r5 mb8 vw0

/******************************************/
/* shift d0 r=5 mb=9                      */
/******************************************/
label_0139: // r5 mb9 
v_cmp_eq_u32 vcc, v99, 0x0                         // 
s_cbranch_vccnz label_0140                         // branch to shift d0 r5 mb9 vw0

/******************************************/
/* shift d0 r=5 mb=10                     */
/******************************************/
label_0141: // r5 mb10 
v_cmp_eq_u32 vcc, v99, 0x0                         // 
s_cbranch_vccnz label_0142                         // branch to shift d0 r5 mb10 vw0

/******************************************/
/* shift d0 r=5 mb=11                     */
/******************************************/
label_0143: // r5 mb11 
v_cmp_eq_u32 vcc, v99, 0x0                         // 
s_cbranch_vccnz label_0144                         // branch to shift d0 r5 mb11 vw0

/******************************************/
/* shift d0 r=6 mb=0                      */
/******************************************/
label_0146: // r6 mb0 
v_cmp_eq_u32 vcc, v99, 0x0                         // 
s_cbranch_vccnz label_0147                         // branch to shift d0 r6 mb0 vw0

/******************************************/
/* shift d0 r=6 mb=1                      */
/******************************************/
label_0148: // r6 mb1 
v_cmp_eq_u32 vcc, v99, 0x0                         // 
s_cbranch_vccnz label_0149                         // branch to shift d0 r6 mb1 vw0

/******************************************/
/* shift d0 r=6 mb=2                      */
/******************************************/
label_0150: // r6 mb2 
v_cmp_eq_u32 vcc, v99, 0x0                         // 
s_cbranch_vccnz label_0151                         // branch to shift d0 r6 mb2 vw0

/******************************************/
/* shift d0 r=6 mb=3                      */
/******************************************/
label_0152: // r6 mb3 
v_cmp_eq_u32 vcc, v99, 0x0                         // 
s_cbranch_vccnz label_0153                         // branch to shift d0 r6 mb3 vw0

/******************************************/
/* shift d0 r=6 mb=4                      */
/******************************************/
label_0154: // r6 mb4 
v_cmp_eq_u32 vcc, v99, 0x0                         // 
s_cbranch_vccnz label_0155                         // branch to shift d0 r6 mb4 vw0

/******************************************/
/* shift d0 r=6 mb=5                      */
/******************************************/
label_0156: // r6 mb5 
v_cmp_eq_u32 vcc, v99, 0x0                         // 
s_cbranch_vccnz label_0157                         // branch to shift d0 r6 mb5 vw0

/******************************************/
/* shift d0 r=6 mb=6                      */
/******************************************/
label_0158: // r6 mb6 
v_cmp_eq_u32 vcc, v99, 0x0                         // 
s_cbranch_vccnz label_0159                         // branch to shift d0 r6 mb6 vw0

/******************************************/
/* shift d0 r=6 mb=7                      */
/******************************************/
label_0160: // r6 mb7 
v_cmp_eq_u32 vcc, v99, 0x0                         // 
s_cbranch_vccnz label_0161                         // branch to shift d0 r6 mb7 vw0

/******************************************/
/* shift d0 r=6 mb=8                      */
/******************************************/
label_0162: // r6 mb8 
v_cmp_eq_u32 vcc, v99, 0x0                         // 
s_cbranch_vccnz label_0163                         // branch to shift d0 r6 mb8 vw0

/******************************************/
/* shift d0 r=6 mb=9                      */
/******************************************/
label_0164: // r6 mb9 
v_cmp_eq_u32 vcc, v99, 0x0                         // 
s_cbranch_vccnz label_0165                         // branch to shift d0 r6 mb9 vw0

/******************************************/
/* shift d0 r=6 mb=10                     */
/******************************************/
label_0166: // r6 mb10 
v_cmp_eq_u32 vcc, v99, 0x0                         // 
s_cbranch_vccnz label_0167                         // branch to shift d0 r6 mb10 vw0

/******************************************/
/* shift d0 r=6 mb=11                     */
/******************************************/
label_0168: // r6 mb11 
v_cmp_eq_u32 vcc, v99, 0x0                         // 
s_cbranch_vccnz label_0169                         // branch to shift d0 r6 mb11 vw0

/******************************************/
/* shift d0 r=7 mb=0                      */
/******************************************/
label_0171: // r7 mb0 
v_cmp_eq_u32 vcc, v99, 0x0                         // 
s_cbranch_vccnz label_0172                         // branch to shift d0 r7 mb0 vw0

/******************************************/
/* shift d0 r=7 mb=1                      */
/******************************************/
label_0173: // r7 mb1 
v_cmp_eq_u32 vcc, v99, 0x0                         // 
s_cbranch_vccnz label_0174                         // branch to shift d0 r7 mb1 vw0

/******************************************/
/* shift d0 r=7 mb=2                      */
/******************************************/
label_0175: // r7 mb2 
v_cmp_eq_u32 vcc, v99, 0x0                         // 
s_cbranch_vccnz label_0176                         // branch to shift d0 r7 mb2 vw0

/******************************************/
/* shift d0 r=7 mb=3                      */
/******************************************/
label_0177: // r7 mb3 
v_cmp_eq_u32 vcc, v99, 0x0                         // 
s_cbranch_vccnz label_0178                         // branch to shift d0 r7 mb3 vw0

/******************************************/
/* shift d0 r=7 mb=4                      */
/******************************************/
label_0179: // r7 mb4 
v_cmp_eq_u32 vcc, v99, 0x0                         // 
s_cbranch_vccnz label_0180                         // branch to shift d0 r7 mb4 vw0

/******************************************/
/* shift d0 r=7 mb=5                      */
/******************************************/
label_0181: // r7 mb5 
v_cmp_eq_u32 vcc, v99, 0x0                         // 
s_cbranch_vccnz label_0182                         // branch to shift d0 r7 mb5 vw0

/******************************************/
/* shift d0 r=7 mb=6                      */
/******************************************/
label_0183: // r7 mb6 
v_cmp_eq_u32 vcc, v99, 0x0                         // 
s_cbranch_vccnz label_0184                         // branch to shift d0 r7 mb6 vw0

/******************************************/
/* shift d0 r=7 mb=7                      */
/******************************************/
label_0185: // r7 mb7 
v_cmp_eq_u32 vcc, v99, 0x0                         // 
s_cbranch_vccnz label_0186                         // branch to shift d0 r7 mb7 vw0

/******************************************/
/* shift d0 r=7 mb=8                      */
/******************************************/
label_0187: // r7 mb8 
v_cmp_eq_u32 vcc, v99, 0x0                         // 
s_cbranch_vccnz label_0188                         // branch to shift d0 r7 mb8 vw0

/******************************************/
/* shift d0 r=7 mb=9                      */
/******************************************/
label_0189: // r7 mb9 
v_cmp_eq_u32 vcc, v99, 0x0                         // 
s_cbranch_vccnz label_0190                         // branch to shift d0 r7 mb9 vw0

/******************************************/
/* shift d0 r=7 mb=10                     */
/******************************************/
label_0191: // r7 mb10 
v_cmp_eq_u32 vcc, v99, 0x0                         // 
s_cbranch_vccnz label_0192                         // branch to shift d0 r7 mb10 vw0

/******************************************/
/* shift d0 r=7 mb=11                     */
/******************************************/
label_0193: // r7 mb11 
v_cmp_eq_u32 vcc, v99, 0x0                         // 
s_cbranch_vccnz label_0194                         // branch to shift d0 r7 mb11 vw0

/******************************************/
/* shift d0 r=1 mb=0 vw0                  */
/******************************************/
label_0022: // r1 mb0 vw0 
s_mov_b32 s10, 0                                   // 
_v_cmpx_eq_u32 s[10:11], v100, s10                 // is thread in edge glvw region
v_and_b32 v96, 63, v[vgprSerial]                   // permute register between threads
v_lshlrev_b32 v96, 2, v96                          // permute register between threads
v_mov_b32 v101, v3                                 // glvw 1 mb 0 tt1 0 r 0
ds_bpermute_b32 v101, v96, v101, offset:128        // permute edge values
s_waitcnt 0                                        // wait for swizzle operation
v_mov_b32 v0, v101                                 // 
v_mov_b32 v101, v51                                // glvw 1 mb 0 tt1 1 r 0
ds_bpermute_b32 v101, v96, v101, offset:128        // permute edge values
s_waitcnt 0                                        // wait for swizzle operation
v_mov_b32 v48, v101                                // 
s_mov_b64 s[10:11], 0xFFFFFFFFFFFFFFFF             // to restore all threads active
s_or_saveexec_b64 vcc, s[10:11]                    // all threads active
s_branch label_0195                                // done shifting


/******************************************/
/* shift d0 r=1 mb=1 vw0                  */
/******************************************/
label_0024: // r1 mb1 vw0 
s_mov_b32 s10, 1                                   // 
_v_cmpx_eq_u32 s[10:11], v100, s10                 // is thread in edge glvw region
v_and_b32 v96, 63, v[vgprSerial]                   // permute register between threads
v_lshlrev_b32 v96, 2, v96                          // permute register between threads
v_mov_b32 v101, v7                                 // glvw 1 mb 1 tt1 0 r 0
ds_bpermute_b32 v101, v96, v101, offset:128        // permute edge values
s_waitcnt 0                                        // wait for swizzle operation
v_mov_b32 v4, v101                                 // 
v_mov_b32 v101, v55                                // glvw 1 mb 1 tt1 1 r 0
ds_bpermute_b32 v101, v96, v101, offset:128        // permute edge values
s_waitcnt 0                                        // wait for swizzle operation
v_mov_b32 v52, v101                                // 
s_mov_b64 s[10:11], 0xFFFFFFFFFFFFFFFF             // to restore all threads active
s_or_saveexec_b64 vcc, s[10:11]                    // all threads active
s_branch label_0195                                // done shifting


/******************************************/
/* shift d0 r=1 mb=2 vw0                  */
/******************************************/
label_0026: // r1 mb2 vw0 
s_mov_b32 s10, 2                                   // 
_v_cmpx_eq_u32 s[10:11], v100, s10                 // is thread in edge glvw region
v_and_b32 v96, 63, v[vgprSerial]                   // permute register between threads
v_lshlrev_b32 v96, 2, v96                          // permute register between threads
v_mov_b32 v101, v11                                // glvw 1 mb 2 tt1 0 r 0
ds_bpermute_b32 v101, v96, v101, offset:128        // permute edge values
s_waitcnt 0                                        // wait for swizzle operation
v_mov_b32 v8, v101                                 // 
v_mov_b32 v101, v59                                // glvw 1 mb 2 tt1 1 r 0
ds_bpermute_b32 v101, v96, v101, offset:128        // permute edge values
s_waitcnt 0                                        // wait for swizzle operation
v_mov_b32 v56, v101                                // 
s_mov_b64 s[10:11], 0xFFFFFFFFFFFFFFFF             // to restore all threads active
s_or_saveexec_b64 vcc, s[10:11]                    // all threads active
s_branch label_0195                                // done shifting


/******************************************/
/* shift d0 r=1 mb=3 vw0                  */
/******************************************/
label_0028: // r1 mb3 vw0 
s_mov_b32 s10, 3                                   // 
_v_cmpx_eq_u32 s[10:11], v100, s10                 // is thread in edge glvw region
v_and_b32 v96, 63, v[vgprSerial]                   // permute register between threads
v_lshlrev_b32 v96, 2, v96                          // permute register between threads
v_mov_b32 v101, v15                                // glvw 1 mb 3 tt1 0 r 0
ds_bpermute_b32 v101, v96, v101, offset:128        // permute edge values
s_waitcnt 0                                        // wait for swizzle operation
v_mov_b32 v12, v101                                // 
v_mov_b32 v101, v63                                // glvw 1 mb 3 tt1 1 r 0
ds_bpermute_b32 v101, v96, v101, offset:128        // permute edge values
s_waitcnt 0                                        // wait for swizzle operation
v_mov_b32 v60, v101                                // 
s_mov_b64 s[10:11], 0xFFFFFFFFFFFFFFFF             // to restore all threads active
s_or_saveexec_b64 vcc, s[10:11]                    // all threads active
s_branch label_0195                                // done shifting


/******************************************/
/* shift d0 r=1 mb=4 vw0                  */
/******************************************/
label_0030: // r1 mb4 vw0 
s_mov_b32 s10, 8                                   // 
_v_cmpx_eq_u32 s[10:11], v100, s10                 // is thread in edge glvw region
v_and_b32 v96, 63, v[vgprSerial]                   // permute register between threads
v_lshlrev_b32 v96, 2, v96                          // permute register between threads
v_mov_b32 v101, v19                                // glvw 1 mb 4 tt1 0 r 0
ds_bpermute_b32 v101, v96, v101, offset:128        // permute edge values
s_waitcnt 0                                        // wait for swizzle operation
v_mov_b32 v16, v101                                // 
v_mov_b32 v101, v67                                // glvw 1 mb 4 tt1 1 r 0
ds_bpermute_b32 v101, v96, v101, offset:128        // permute edge values
s_waitcnt 0                                        // wait for swizzle operation
v_mov_b32 v64, v101                                // 
s_mov_b64 s[10:11], 0xFFFFFFFFFFFFFFFF             // to restore all threads active
s_or_saveexec_b64 vcc, s[10:11]                    // all threads active
s_branch label_0195                                // done shifting


/******************************************/
/* shift d0 r=1 mb=5 vw0                  */
/******************************************/
label_0032: // r1 mb5 vw0 
s_mov_b32 s10, 9                                   // 
_v_cmpx_eq_u32 s[10:11], v100, s10                 // is thread in edge glvw region
v_and_b32 v96, 63, v[vgprSerial]                   // permute register between threads
v_lshlrev_b32 v96, 2, v96                          // permute register between threads
v_mov_b32 v101, v23                                // glvw 1 mb 5 tt1 0 r 0
ds_bpermute_b32 v101, v96, v101, offset:128        // permute edge values
s_waitcnt 0                                        // wait for swizzle operation
v_mov_b32 v20, v101                                // 
v_mov_b32 v101, v71                                // glvw 1 mb 5 tt1 1 r 0
ds_bpermute_b32 v101, v96, v101, offset:128        // permute edge values
s_waitcnt 0                                        // wait for swizzle operation
v_mov_b32 v68, v101                                // 
s_mov_b64 s[10:11], 0xFFFFFFFFFFFFFFFF             // to restore all threads active
s_or_saveexec_b64 vcc, s[10:11]                    // all threads active
s_branch label_0195                                // done shifting


/******************************************/
/* shift d0 r=1 mb=6 vw0                  */
/******************************************/
label_0034: // r1 mb6 vw0 
s_mov_b32 s10, 10                                  // 
_v_cmpx_eq_u32 s[10:11], v100, s10                 // is thread in edge glvw region
v_and_b32 v96, 63, v[vgprSerial]                   // permute register between threads
v_lshlrev_b32 v96, 2, v96                          // permute register between threads
v_mov_b32 v101, v27                                // glvw 1 mb 6 tt1 0 r 0
ds_bpermute_b32 v101, v96, v101, offset:128        // permute edge values
s_waitcnt 0                                        // wait for swizzle operation
v_mov_b32 v24, v101                                // 
v_mov_b32 v101, v75                                // glvw 1 mb 6 tt1 1 r 0
ds_bpermute_b32 v101, v96, v101, offset:128        // permute edge values
s_waitcnt 0                                        // wait for swizzle operation
v_mov_b32 v72, v101                                // 
s_mov_b64 s[10:11], 0xFFFFFFFFFFFFFFFF             // to restore all threads active
s_or_saveexec_b64 vcc, s[10:11]                    // all threads active
s_branch label_0195                                // done shifting


/******************************************/
/* shift d0 r=1 mb=7 vw0                  */
/******************************************/
label_0036: // r1 mb7 vw0 
s_mov_b32 s10, 11                                  // 
_v_cmpx_eq_u32 s[10:11], v100, s10                 // is thread in edge glvw region
v_and_b32 v96, 63, v[vgprSerial]                   // permute register between threads
v_lshlrev_b32 v96, 2, v96                          // permute register between threads
v_mov_b32 v101, v31                                // glvw 1 mb 7 tt1 0 r 0
ds_bpermute_b32 v101, v96, v101, offset:128        // permute edge values
s_waitcnt 0                                        // wait for swizzle operation
v_mov_b32 v28, v101                                // 
v_mov_b32 v101, v79                                // glvw 1 mb 7 tt1 1 r 0
ds_bpermute_b32 v101, v96, v101, offset:128        // permute edge values
s_waitcnt 0                                        // wait for swizzle operation
v_mov_b32 v76, v101                                // 
s_mov_b64 s[10:11], 0xFFFFFFFFFFFFFFFF             // to restore all threads active
s_or_saveexec_b64 vcc, s[10:11]                    // all threads active
s_branch label_0195                                // done shifting


/******************************************/
/* shift d0 r=1 mb=8 vw0                  */
/******************************************/
label_0038: // r1 mb8 vw0 
s_mov_b32 s10, 16                                  // 
_v_cmpx_eq_u32 s[10:11], v100, s10                 // is thread in edge glvw region
v_and_b32 v96, 63, v[vgprSerial]                   // permute register between threads
v_lshlrev_b32 v96, 2, v96                          // permute register between threads
v_mov_b32 v101, v35                                // glvw 1 mb 8 tt1 0 r 0
ds_bpermute_b32 v101, v96, v101, offset:128        // permute edge values
s_waitcnt 0                                        // wait for swizzle operation
v_mov_b32 v32, v101                                // 
v_mov_b32 v101, v83                                // glvw 1 mb 8 tt1 1 r 0
ds_bpermute_b32 v101, v96, v101, offset:128        // permute edge values
s_waitcnt 0                                        // wait for swizzle operation
v_mov_b32 v80, v101                                // 
s_mov_b64 s[10:11], 0xFFFFFFFFFFFFFFFF             // to restore all threads active
s_or_saveexec_b64 vcc, s[10:11]                    // all threads active
s_branch label_0195                                // done shifting


/******************************************/
/* shift d0 r=1 mb=9 vw0                  */
/******************************************/
label_0040: // r1 mb9 vw0 
s_mov_b32 s10, 17                                  // 
_v_cmpx_eq_u32 s[10:11], v100, s10                 // is thread in edge glvw region
v_and_b32 v96, 63, v[vgprSerial]                   // permute register between threads
v_lshlrev_b32 v96, 2, v96                          // permute register between threads
v_mov_b32 v101, v39                                // glvw 1 mb 9 tt1 0 r 0
ds_bpermute_b32 v101, v96, v101, offset:128        // permute edge values
s_waitcnt 0                                        // wait for swizzle operation
v_mov_b32 v36, v101                                // 
v_mov_b32 v101, v87                                // glvw 1 mb 9 tt1 1 r 0
ds_bpermute_b32 v101, v96, v101, offset:128        // permute edge values
s_waitcnt 0                                        // wait for swizzle operation
v_mov_b32 v84, v101                                // 
s_mov_b64 s[10:11], 0xFFFFFFFFFFFFFFFF             // to restore all threads active
s_or_saveexec_b64 vcc, s[10:11]                    // all threads active
s_branch label_0195                                // done shifting


/******************************************/
/* shift d0 r=1 mb=10 vw0                 */
/******************************************/
label_0042: // r1 mb10 vw0 
s_mov_b32 s10, 18                                  // 
_v_cmpx_eq_u32 s[10:11], v100, s10                 // is thread in edge glvw region
v_and_b32 v96, 63, v[vgprSerial]                   // permute register between threads
v_lshlrev_b32 v96, 2, v96                          // permute register between threads
v_mov_b32 v101, v43                                // glvw 1 mb 10 tt1 0 r 0
ds_bpermute_b32 v101, v96, v101, offset:128        // permute edge values
s_waitcnt 0                                        // wait for swizzle operation
v_mov_b32 v40, v101                                // 
v_mov_b32 v101, v91                                // glvw 1 mb 10 tt1 1 r 0
ds_bpermute_b32 v101, v96, v101, offset:128        // permute edge values
s_waitcnt 0                                        // wait for swizzle operation
v_mov_b32 v88, v101                                // 
s_mov_b64 s[10:11], 0xFFFFFFFFFFFFFFFF             // to restore all threads active
s_or_saveexec_b64 vcc, s[10:11]                    // all threads active
s_branch label_0195                                // done shifting


/******************************************/
/* shift d0 r=1 mb=11 vw0                 */
/******************************************/
label_0044: // r1 mb11 vw0 
s_mov_b32 s10, 19                                  // 
_v_cmpx_eq_u32 s[10:11], v100, s10                 // is thread in edge glvw region
v_and_b32 v96, 63, v[vgprSerial]                   // permute register between threads
v_lshlrev_b32 v96, 2, v96                          // permute register between threads
v_mov_b32 v101, v47                                // glvw 1 mb 11 tt1 0 r 0
ds_bpermute_b32 v101, v96, v101, offset:128        // permute edge values
s_waitcnt 0                                        // wait for swizzle operation
v_mov_b32 v44, v101                                // 
v_mov_b32 v101, v95                                // glvw 1 mb 11 tt1 1 r 0
ds_bpermute_b32 v101, v96, v101, offset:128        // permute edge values
s_waitcnt 0                                        // wait for swizzle operation
v_mov_b32 v92, v101                                // 
s_mov_b64 s[10:11], 0xFFFFFFFFFFFFFFFF             // to restore all threads active
s_or_saveexec_b64 vcc, s[10:11]                    // all threads active
s_branch label_0195                                // done shifting


/******************************************/
/* shift d0 r=2 mb=0 vw0                  */
/******************************************/
label_0047: // r2 mb0 vw0 
s_mov_b32 s10, 0                                   // 
_v_cmpx_eq_u32 s[10:11], v100, s10                 // is thread in edge glvw region
v_and_b32 v96, 63, v[vgprSerial]                   // permute register between threads
v_lshlrev_b32 v96, 2, v96                          // permute register between threads
v_mov_b32 v101, v2                                 // glvw 2 mb 0 tt1 0 r 0
v_mov_b32 v102, v3                                 // glvw 2 mb 0 tt1 0 r 0
ds_bpermute_b32 v101, v96, v101, offset:128        // permute edge values
ds_bpermute_b32 v102, v96, v102, offset:128        // permute edge values
s_waitcnt 0                                        // wait for swizzle operation
v_mov_b32 v0, v101                                 // 
v_mov_b32 v1, v102                                 // 
v_mov_b32 v101, v50                                // glvw 2 mb 0 tt1 1 r 0
v_mov_b32 v102, v51                                // glvw 2 mb 0 tt1 1 r 0
ds_bpermute_b32 v101, v96, v101, offset:128        // permute edge values
ds_bpermute_b32 v102, v96, v102, offset:128        // permute edge values
s_waitcnt 0                                        // wait for swizzle operation
v_mov_b32 v48, v101                                // 
v_mov_b32 v49, v102                                // 
s_mov_b64 s[10:11], 0xFFFFFFFFFFFFFFFF             // to restore all threads active
s_or_saveexec_b64 vcc, s[10:11]                    // all threads active
s_branch label_0195                                // done shifting


/******************************************/
/* shift d0 r=2 mb=1 vw0                  */
/******************************************/
label_0049: // r2 mb1 vw0 
s_mov_b32 s10, 1                                   // 
_v_cmpx_eq_u32 s[10:11], v100, s10                 // is thread in edge glvw region
v_and_b32 v96, 63, v[vgprSerial]                   // permute register between threads
v_lshlrev_b32 v96, 2, v96                          // permute register between threads
v_mov_b32 v101, v6                                 // glvw 2 mb 1 tt1 0 r 0
v_mov_b32 v102, v7                                 // glvw 2 mb 1 tt1 0 r 0
ds_bpermute_b32 v101, v96, v101, offset:128        // permute edge values
ds_bpermute_b32 v102, v96, v102, offset:128        // permute edge values
s_waitcnt 0                                        // wait for swizzle operation
v_mov_b32 v4, v101                                 // 
v_mov_b32 v5, v102                                 // 
v_mov_b32 v101, v54                                // glvw 2 mb 1 tt1 1 r 0
v_mov_b32 v102, v55                                // glvw 2 mb 1 tt1 1 r 0
ds_bpermute_b32 v101, v96, v101, offset:128        // permute edge values
ds_bpermute_b32 v102, v96, v102, offset:128        // permute edge values
s_waitcnt 0                                        // wait for swizzle operation
v_mov_b32 v52, v101                                // 
v_mov_b32 v53, v102                                // 
s_mov_b64 s[10:11], 0xFFFFFFFFFFFFFFFF             // to restore all threads active
s_or_saveexec_b64 vcc, s[10:11]                    // all threads active
s_branch label_0195                                // done shifting


/******************************************/
/* shift d0 r=2 mb=2 vw0                  */
/******************************************/
label_0051: // r2 mb2 vw0 
s_mov_b32 s10, 2                                   // 
_v_cmpx_eq_u32 s[10:11], v100, s10                 // is thread in edge glvw region
v_and_b32 v96, 63, v[vgprSerial]                   // permute register between threads
v_lshlrev_b32 v96, 2, v96                          // permute register between threads
v_mov_b32 v101, v10                                // glvw 2 mb 2 tt1 0 r 0
v_mov_b32 v102, v11                                // glvw 2 mb 2 tt1 0 r 0
ds_bpermute_b32 v101, v96, v101, offset:128        // permute edge values
ds_bpermute_b32 v102, v96, v102, offset:128        // permute edge values
s_waitcnt 0                                        // wait for swizzle operation
v_mov_b32 v8, v101                                 // 
v_mov_b32 v9, v102                                 // 
v_mov_b32 v101, v58                                // glvw 2 mb 2 tt1 1 r 0
v_mov_b32 v102, v59                                // glvw 2 mb 2 tt1 1 r 0
ds_bpermute_b32 v101, v96, v101, offset:128        // permute edge values
ds_bpermute_b32 v102, v96, v102, offset:128        // permute edge values
s_waitcnt 0                                        // wait for swizzle operation
v_mov_b32 v56, v101                                // 
v_mov_b32 v57, v102                                // 
s_mov_b64 s[10:11], 0xFFFFFFFFFFFFFFFF             // to restore all threads active
s_or_saveexec_b64 vcc, s[10:11]                    // all threads active
s_branch label_0195                                // done shifting


/******************************************/
/* shift d0 r=2 mb=3 vw0                  */
/******************************************/
label_0053: // r2 mb3 vw0 
s_mov_b32 s10, 3                                   // 
_v_cmpx_eq_u32 s[10:11], v100, s10                 // is thread in edge glvw region
v_and_b32 v96, 63, v[vgprSerial]                   // permute register between threads
v_lshlrev_b32 v96, 2, v96                          // permute register between threads
v_mov_b32 v101, v14                                // glvw 2 mb 3 tt1 0 r 0
v_mov_b32 v102, v15                                // glvw 2 mb 3 tt1 0 r 0
ds_bpermute_b32 v101, v96, v101, offset:128        // permute edge values
ds_bpermute_b32 v102, v96, v102, offset:128        // permute edge values
s_waitcnt 0                                        // wait for swizzle operation
v_mov_b32 v12, v101                                // 
v_mov_b32 v13, v102                                // 
v_mov_b32 v101, v62                                // glvw 2 mb 3 tt1 1 r 0
v_mov_b32 v102, v63                                // glvw 2 mb 3 tt1 1 r 0
ds_bpermute_b32 v101, v96, v101, offset:128        // permute edge values
ds_bpermute_b32 v102, v96, v102, offset:128        // permute edge values
s_waitcnt 0                                        // wait for swizzle operation
v_mov_b32 v60, v101                                // 
v_mov_b32 v61, v102                                // 
s_mov_b64 s[10:11], 0xFFFFFFFFFFFFFFFF             // to restore all threads active
s_or_saveexec_b64 vcc, s[10:11]                    // all threads active
s_branch label_0195                                // done shifting


/******************************************/
/* shift d0 r=2 mb=4 vw0                  */
/******************************************/
label_0055: // r2 mb4 vw0 
s_mov_b32 s10, 8                                   // 
_v_cmpx_eq_u32 s[10:11], v100, s10                 // is thread in edge glvw region
v_and_b32 v96, 63, v[vgprSerial]                   // permute register between threads
v_lshlrev_b32 v96, 2, v96                          // permute register between threads
v_mov_b32 v101, v18                                // glvw 2 mb 4 tt1 0 r 0
v_mov_b32 v102, v19                                // glvw 2 mb 4 tt1 0 r 0
ds_bpermute_b32 v101, v96, v101, offset:128        // permute edge values
ds_bpermute_b32 v102, v96, v102, offset:128        // permute edge values
s_waitcnt 0                                        // wait for swizzle operation
v_mov_b32 v16, v101                                // 
v_mov_b32 v17, v102                                // 
v_mov_b32 v101, v66                                // glvw 2 mb 4 tt1 1 r 0
v_mov_b32 v102, v67                                // glvw 2 mb 4 tt1 1 r 0
ds_bpermute_b32 v101, v96, v101, offset:128        // permute edge values
ds_bpermute_b32 v102, v96, v102, offset:128        // permute edge values
s_waitcnt 0                                        // wait for swizzle operation
v_mov_b32 v64, v101                                // 
v_mov_b32 v65, v102                                // 
s_mov_b64 s[10:11], 0xFFFFFFFFFFFFFFFF             // to restore all threads active
s_or_saveexec_b64 vcc, s[10:11]                    // all threads active
s_branch label_0195                                // done shifting


/******************************************/
/* shift d0 r=2 mb=5 vw0                  */
/******************************************/
label_0057: // r2 mb5 vw0 
s_mov_b32 s10, 9                                   // 
_v_cmpx_eq_u32 s[10:11], v100, s10                 // is thread in edge glvw region
v_and_b32 v96, 63, v[vgprSerial]                   // permute register between threads
v_lshlrev_b32 v96, 2, v96                          // permute register between threads
v_mov_b32 v101, v22                                // glvw 2 mb 5 tt1 0 r 0
v_mov_b32 v102, v23                                // glvw 2 mb 5 tt1 0 r 0
ds_bpermute_b32 v101, v96, v101, offset:128        // permute edge values
ds_bpermute_b32 v102, v96, v102, offset:128        // permute edge values
s_waitcnt 0                                        // wait for swizzle operation
v_mov_b32 v20, v101                                // 
v_mov_b32 v21, v102                                // 
v_mov_b32 v101, v70                                // glvw 2 mb 5 tt1 1 r 0
v_mov_b32 v102, v71                                // glvw 2 mb 5 tt1 1 r 0
ds_bpermute_b32 v101, v96, v101, offset:128        // permute edge values
ds_bpermute_b32 v102, v96, v102, offset:128        // permute edge values
s_waitcnt 0                                        // wait for swizzle operation
v_mov_b32 v68, v101                                // 
v_mov_b32 v69, v102                                // 
s_mov_b64 s[10:11], 0xFFFFFFFFFFFFFFFF             // to restore all threads active
s_or_saveexec_b64 vcc, s[10:11]                    // all threads active
s_branch label_0195                                // done shifting


/******************************************/
/* shift d0 r=2 mb=6 vw0                  */
/******************************************/
label_0059: // r2 mb6 vw0 
s_mov_b32 s10, 10                                  // 
_v_cmpx_eq_u32 s[10:11], v100, s10                 // is thread in edge glvw region
v_and_b32 v96, 63, v[vgprSerial]                   // permute register between threads
v_lshlrev_b32 v96, 2, v96                          // permute register between threads
v_mov_b32 v101, v26                                // glvw 2 mb 6 tt1 0 r 0
v_mov_b32 v102, v27                                // glvw 2 mb 6 tt1 0 r 0
ds_bpermute_b32 v101, v96, v101, offset:128        // permute edge values
ds_bpermute_b32 v102, v96, v102, offset:128        // permute edge values
s_waitcnt 0                                        // wait for swizzle operation
v_mov_b32 v24, v101                                // 
v_mov_b32 v25, v102                                // 
v_mov_b32 v101, v74                                // glvw 2 mb 6 tt1 1 r 0
v_mov_b32 v102, v75                                // glvw 2 mb 6 tt1 1 r 0
ds_bpermute_b32 v101, v96, v101, offset:128        // permute edge values
ds_bpermute_b32 v102, v96, v102, offset:128        // permute edge values
s_waitcnt 0                                        // wait for swizzle operation
v_mov_b32 v72, v101                                // 
v_mov_b32 v73, v102                                // 
s_mov_b64 s[10:11], 0xFFFFFFFFFFFFFFFF             // to restore all threads active
s_or_saveexec_b64 vcc, s[10:11]                    // all threads active
s_branch label_0195                                // done shifting


/******************************************/
/* shift d0 r=2 mb=7 vw0                  */
/******************************************/
label_0061: // r2 mb7 vw0 
s_mov_b32 s10, 11                                  // 
_v_cmpx_eq_u32 s[10:11], v100, s10                 // is thread in edge glvw region
v_and_b32 v96, 63, v[vgprSerial]                   // permute register between threads
v_lshlrev_b32 v96, 2, v96                          // permute register between threads
v_mov_b32 v101, v30                                // glvw 2 mb 7 tt1 0 r 0
v_mov_b32 v102, v31                                // glvw 2 mb 7 tt1 0 r 0
ds_bpermute_b32 v101, v96, v101, offset:128        // permute edge values
ds_bpermute_b32 v102, v96, v102, offset:128        // permute edge values
s_waitcnt 0                                        // wait for swizzle operation
v_mov_b32 v28, v101                                // 
v_mov_b32 v29, v102                                // 
v_mov_b32 v101, v78                                // glvw 2 mb 7 tt1 1 r 0
v_mov_b32 v102, v79                                // glvw 2 mb 7 tt1 1 r 0
ds_bpermute_b32 v101, v96, v101, offset:128        // permute edge values
ds_bpermute_b32 v102, v96, v102, offset:128        // permute edge values
s_waitcnt 0                                        // wait for swizzle operation
v_mov_b32 v76, v101                                // 
v_mov_b32 v77, v102                                // 
s_mov_b64 s[10:11], 0xFFFFFFFFFFFFFFFF             // to restore all threads active
s_or_saveexec_b64 vcc, s[10:11]                    // all threads active
s_branch label_0195                                // done shifting


/******************************************/
/* shift d0 r=2 mb=8 vw0                  */
/******************************************/
label_0063: // r2 mb8 vw0 
s_mov_b32 s10, 16                                  // 
_v_cmpx_eq_u32 s[10:11], v100, s10                 // is thread in edge glvw region
v_and_b32 v96, 63, v[vgprSerial]                   // permute register between threads
v_lshlrev_b32 v96, 2, v96                          // permute register between threads
v_mov_b32 v101, v34                                // glvw 2 mb 8 tt1 0 r 0
v_mov_b32 v102, v35                                // glvw 2 mb 8 tt1 0 r 0
ds_bpermute_b32 v101, v96, v101, offset:128        // permute edge values
ds_bpermute_b32 v102, v96, v102, offset:128        // permute edge values
s_waitcnt 0                                        // wait for swizzle operation
v_mov_b32 v32, v101                                // 
v_mov_b32 v33, v102                                // 
v_mov_b32 v101, v82                                // glvw 2 mb 8 tt1 1 r 0
v_mov_b32 v102, v83                                // glvw 2 mb 8 tt1 1 r 0
ds_bpermute_b32 v101, v96, v101, offset:128        // permute edge values
ds_bpermute_b32 v102, v96, v102, offset:128        // permute edge values
s_waitcnt 0                                        // wait for swizzle operation
v_mov_b32 v80, v101                                // 
v_mov_b32 v81, v102                                // 
s_mov_b64 s[10:11], 0xFFFFFFFFFFFFFFFF             // to restore all threads active
s_or_saveexec_b64 vcc, s[10:11]                    // all threads active
s_branch label_0195                                // done shifting


/******************************************/
/* shift d0 r=2 mb=9 vw0                  */
/******************************************/
label_0065: // r2 mb9 vw0 
s_mov_b32 s10, 17                                  // 
_v_cmpx_eq_u32 s[10:11], v100, s10                 // is thread in edge glvw region
v_and_b32 v96, 63, v[vgprSerial]                   // permute register between threads
v_lshlrev_b32 v96, 2, v96                          // permute register between threads
v_mov_b32 v101, v38                                // glvw 2 mb 9 tt1 0 r 0
v_mov_b32 v102, v39                                // glvw 2 mb 9 tt1 0 r 0
ds_bpermute_b32 v101, v96, v101, offset:128        // permute edge values
ds_bpermute_b32 v102, v96, v102, offset:128        // permute edge values
s_waitcnt 0                                        // wait for swizzle operation
v_mov_b32 v36, v101                                // 
v_mov_b32 v37, v102                                // 
v_mov_b32 v101, v86                                // glvw 2 mb 9 tt1 1 r 0
v_mov_b32 v102, v87                                // glvw 2 mb 9 tt1 1 r 0
ds_bpermute_b32 v101, v96, v101, offset:128        // permute edge values
ds_bpermute_b32 v102, v96, v102, offset:128        // permute edge values
s_waitcnt 0                                        // wait for swizzle operation
v_mov_b32 v84, v101                                // 
v_mov_b32 v85, v102                                // 
s_mov_b64 s[10:11], 0xFFFFFFFFFFFFFFFF             // to restore all threads active
s_or_saveexec_b64 vcc, s[10:11]                    // all threads active
s_branch label_0195                                // done shifting


/******************************************/
/* shift d0 r=2 mb=10 vw0                 */
/******************************************/
label_0067: // r2 mb10 vw0 
s_mov_b32 s10, 18                                  // 
_v_cmpx_eq_u32 s[10:11], v100, s10                 // is thread in edge glvw region
v_and_b32 v96, 63, v[vgprSerial]                   // permute register between threads
v_lshlrev_b32 v96, 2, v96                          // permute register between threads
v_mov_b32 v101, v42                                // glvw 2 mb 10 tt1 0 r 0
v_mov_b32 v102, v43                                // glvw 2 mb 10 tt1 0 r 0
ds_bpermute_b32 v101, v96, v101, offset:128        // permute edge values
ds_bpermute_b32 v102, v96, v102, offset:128        // permute edge values
s_waitcnt 0                                        // wait for swizzle operation
v_mov_b32 v40, v101                                // 
v_mov_b32 v41, v102                                // 
v_mov_b32 v101, v90                                // glvw 2 mb 10 tt1 1 r 0
v_mov_b32 v102, v91                                // glvw 2 mb 10 tt1 1 r 0
ds_bpermute_b32 v101, v96, v101, offset:128        // permute edge values
ds_bpermute_b32 v102, v96, v102, offset:128        // permute edge values
s_waitcnt 0                                        // wait for swizzle operation
v_mov_b32 v88, v101                                // 
v_mov_b32 v89, v102                                // 
s_mov_b64 s[10:11], 0xFFFFFFFFFFFFFFFF             // to restore all threads active
s_or_saveexec_b64 vcc, s[10:11]                    // all threads active
s_branch label_0195                                // done shifting


/******************************************/
/* shift d0 r=2 mb=11 vw0                 */
/******************************************/
label_0069: // r2 mb11 vw0 
s_mov_b32 s10, 19                                  // 
_v_cmpx_eq_u32 s[10:11], v100, s10                 // is thread in edge glvw region
v_and_b32 v96, 63, v[vgprSerial]                   // permute register between threads
v_lshlrev_b32 v96, 2, v96                          // permute register between threads
v_mov_b32 v101, v46                                // glvw 2 mb 11 tt1 0 r 0
v_mov_b32 v102, v47                                // glvw 2 mb 11 tt1 0 r 0
ds_bpermute_b32 v101, v96, v101, offset:128        // permute edge values
ds_bpermute_b32 v102, v96, v102, offset:128        // permute edge values
s_waitcnt 0                                        // wait for swizzle operation
v_mov_b32 v44, v101                                // 
v_mov_b32 v45, v102                                // 
v_mov_b32 v101, v94                                // glvw 2 mb 11 tt1 1 r 0
v_mov_b32 v102, v95                                // glvw 2 mb 11 tt1 1 r 0
ds_bpermute_b32 v101, v96, v101, offset:128        // permute edge values
ds_bpermute_b32 v102, v96, v102, offset:128        // permute edge values
s_waitcnt 0                                        // wait for swizzle operation
v_mov_b32 v92, v101                                // 
v_mov_b32 v93, v102                                // 
s_mov_b64 s[10:11], 0xFFFFFFFFFFFFFFFF             // to restore all threads active
s_or_saveexec_b64 vcc, s[10:11]                    // all threads active
s_branch label_0195                                // done shifting


/******************************************/
/* shift d0 r=3 mb=0 vw0                  */
/******************************************/
label_0072: // r3 mb0 vw0 
s_mov_b32 s10, 0                                   // 
_v_cmpx_eq_u32 s[10:11], v100, s10                 // is thread in edge glvw region
v_and_b32 v96, 63, v[vgprSerial]                   // permute register between threads
v_lshlrev_b32 v96, 2, v96                          // permute register between threads
v_mov_b32 v101, v1                                 // glvw 3 mb 0 tt1 0 r 0
v_mov_b32 v102, v2                                 // glvw 3 mb 0 tt1 0 r 0
	;; [unrolled: 1-line block ×3, first 2 shown]
ds_bpermute_b32 v101, v96, v101, offset:128        // permute edge values
ds_bpermute_b32 v102, v96, v102, offset:128        // permute edge values
	;; [unrolled: 1-line block ×3, first 2 shown]
s_waitcnt 0                                        // wait for swizzle operation
v_mov_b32 v0, v101                                 // 
v_mov_b32 v1, v102                                 // 
	;; [unrolled: 1-line block ×3, first 2 shown]
v_mov_b32 v101, v49                                // glvw 3 mb 0 tt1 1 r 0
v_mov_b32 v102, v50                                // glvw 3 mb 0 tt1 1 r 0
	;; [unrolled: 1-line block ×3, first 2 shown]
ds_bpermute_b32 v101, v96, v101, offset:128        // permute edge values
ds_bpermute_b32 v102, v96, v102, offset:128        // permute edge values
	;; [unrolled: 1-line block ×3, first 2 shown]
s_waitcnt 0                                        // wait for swizzle operation
v_mov_b32 v48, v101                                // 
v_mov_b32 v49, v102                                // 
	;; [unrolled: 1-line block ×3, first 2 shown]
s_mov_b64 s[10:11], 0xFFFFFFFFFFFFFFFF             // to restore all threads active
s_or_saveexec_b64 vcc, s[10:11]                    // all threads active
s_branch label_0195                                // done shifting


/******************************************/
/* shift d0 r=3 mb=1 vw0                  */
/******************************************/
label_0074: // r3 mb1 vw0 
s_mov_b32 s10, 1                                   // 
_v_cmpx_eq_u32 s[10:11], v100, s10                 // is thread in edge glvw region
v_and_b32 v96, 63, v[vgprSerial]                   // permute register between threads
v_lshlrev_b32 v96, 2, v96                          // permute register between threads
v_mov_b32 v101, v5                                 // glvw 3 mb 1 tt1 0 r 0
v_mov_b32 v102, v6                                 // glvw 3 mb 1 tt1 0 r 0
	;; [unrolled: 1-line block ×3, first 2 shown]
ds_bpermute_b32 v101, v96, v101, offset:128        // permute edge values
ds_bpermute_b32 v102, v96, v102, offset:128        // permute edge values
	;; [unrolled: 1-line block ×3, first 2 shown]
s_waitcnt 0                                        // wait for swizzle operation
v_mov_b32 v4, v101                                 // 
v_mov_b32 v5, v102                                 // 
	;; [unrolled: 1-line block ×3, first 2 shown]
v_mov_b32 v101, v53                                // glvw 3 mb 1 tt1 1 r 0
v_mov_b32 v102, v54                                // glvw 3 mb 1 tt1 1 r 0
	;; [unrolled: 1-line block ×3, first 2 shown]
ds_bpermute_b32 v101, v96, v101, offset:128        // permute edge values
ds_bpermute_b32 v102, v96, v102, offset:128        // permute edge values
	;; [unrolled: 1-line block ×3, first 2 shown]
s_waitcnt 0                                        // wait for swizzle operation
v_mov_b32 v52, v101                                // 
v_mov_b32 v53, v102                                // 
	;; [unrolled: 1-line block ×3, first 2 shown]
s_mov_b64 s[10:11], 0xFFFFFFFFFFFFFFFF             // to restore all threads active
s_or_saveexec_b64 vcc, s[10:11]                    // all threads active
s_branch label_0195                                // done shifting


/******************************************/
/* shift d0 r=3 mb=2 vw0                  */
/******************************************/
label_0076: // r3 mb2 vw0 
s_mov_b32 s10, 2                                   // 
_v_cmpx_eq_u32 s[10:11], v100, s10                 // is thread in edge glvw region
v_and_b32 v96, 63, v[vgprSerial]                   // permute register between threads
v_lshlrev_b32 v96, 2, v96                          // permute register between threads
v_mov_b32 v101, v9                                 // glvw 3 mb 2 tt1 0 r 0
v_mov_b32 v102, v10                                // glvw 3 mb 2 tt1 0 r 0
v_mov_b32 v103, v11                                // glvw 3 mb 2 tt1 0 r 0
ds_bpermute_b32 v101, v96, v101, offset:128        // permute edge values
ds_bpermute_b32 v102, v96, v102, offset:128        // permute edge values
	;; [unrolled: 1-line block ×3, first 2 shown]
s_waitcnt 0                                        // wait for swizzle operation
v_mov_b32 v8, v101                                 // 
v_mov_b32 v9, v102                                 // 
v_mov_b32 v10, v103                                // 
v_mov_b32 v101, v57                                // glvw 3 mb 2 tt1 1 r 0
v_mov_b32 v102, v58                                // glvw 3 mb 2 tt1 1 r 0
	;; [unrolled: 1-line block ×3, first 2 shown]
ds_bpermute_b32 v101, v96, v101, offset:128        // permute edge values
ds_bpermute_b32 v102, v96, v102, offset:128        // permute edge values
	;; [unrolled: 1-line block ×3, first 2 shown]
s_waitcnt 0                                        // wait for swizzle operation
v_mov_b32 v56, v101                                // 
v_mov_b32 v57, v102                                // 
	;; [unrolled: 1-line block ×3, first 2 shown]
s_mov_b64 s[10:11], 0xFFFFFFFFFFFFFFFF             // to restore all threads active
s_or_saveexec_b64 vcc, s[10:11]                    // all threads active
s_branch label_0195                                // done shifting


/******************************************/
/* shift d0 r=3 mb=3 vw0                  */
/******************************************/
label_0078: // r3 mb3 vw0 
s_mov_b32 s10, 3                                   // 
_v_cmpx_eq_u32 s[10:11], v100, s10                 // is thread in edge glvw region
v_and_b32 v96, 63, v[vgprSerial]                   // permute register between threads
v_lshlrev_b32 v96, 2, v96                          // permute register between threads
v_mov_b32 v101, v13                                // glvw 3 mb 3 tt1 0 r 0
v_mov_b32 v102, v14                                // glvw 3 mb 3 tt1 0 r 0
	;; [unrolled: 1-line block ×3, first 2 shown]
ds_bpermute_b32 v101, v96, v101, offset:128        // permute edge values
ds_bpermute_b32 v102, v96, v102, offset:128        // permute edge values
	;; [unrolled: 1-line block ×3, first 2 shown]
s_waitcnt 0                                        // wait for swizzle operation
v_mov_b32 v12, v101                                // 
v_mov_b32 v13, v102                                // 
	;; [unrolled: 1-line block ×3, first 2 shown]
v_mov_b32 v101, v61                                // glvw 3 mb 3 tt1 1 r 0
v_mov_b32 v102, v62                                // glvw 3 mb 3 tt1 1 r 0
	;; [unrolled: 1-line block ×3, first 2 shown]
ds_bpermute_b32 v101, v96, v101, offset:128        // permute edge values
ds_bpermute_b32 v102, v96, v102, offset:128        // permute edge values
ds_bpermute_b32 v103, v96, v103, offset:128        // permute edge values
s_waitcnt 0                                        // wait for swizzle operation
v_mov_b32 v60, v101                                // 
v_mov_b32 v61, v102                                // 
	;; [unrolled: 1-line block ×3, first 2 shown]
s_mov_b64 s[10:11], 0xFFFFFFFFFFFFFFFF             // to restore all threads active
s_or_saveexec_b64 vcc, s[10:11]                    // all threads active
s_branch label_0195                                // done shifting


/******************************************/
/* shift d0 r=3 mb=4 vw0                  */
/******************************************/
label_0080: // r3 mb4 vw0 
s_mov_b32 s10, 8                                   // 
_v_cmpx_eq_u32 s[10:11], v100, s10                 // is thread in edge glvw region
v_and_b32 v96, 63, v[vgprSerial]                   // permute register between threads
v_lshlrev_b32 v96, 2, v96                          // permute register between threads
v_mov_b32 v101, v17                                // glvw 3 mb 4 tt1 0 r 0
v_mov_b32 v102, v18                                // glvw 3 mb 4 tt1 0 r 0
	;; [unrolled: 1-line block ×3, first 2 shown]
ds_bpermute_b32 v101, v96, v101, offset:128        // permute edge values
ds_bpermute_b32 v102, v96, v102, offset:128        // permute edge values
	;; [unrolled: 1-line block ×3, first 2 shown]
s_waitcnt 0                                        // wait for swizzle operation
v_mov_b32 v16, v101                                // 
v_mov_b32 v17, v102                                // 
	;; [unrolled: 1-line block ×3, first 2 shown]
v_mov_b32 v101, v65                                // glvw 3 mb 4 tt1 1 r 0
v_mov_b32 v102, v66                                // glvw 3 mb 4 tt1 1 r 0
	;; [unrolled: 1-line block ×3, first 2 shown]
ds_bpermute_b32 v101, v96, v101, offset:128        // permute edge values
ds_bpermute_b32 v102, v96, v102, offset:128        // permute edge values
ds_bpermute_b32 v103, v96, v103, offset:128        // permute edge values
s_waitcnt 0                                        // wait for swizzle operation
v_mov_b32 v64, v101                                // 
v_mov_b32 v65, v102                                // 
	;; [unrolled: 1-line block ×3, first 2 shown]
s_mov_b64 s[10:11], 0xFFFFFFFFFFFFFFFF             // to restore all threads active
s_or_saveexec_b64 vcc, s[10:11]                    // all threads active
s_branch label_0195                                // done shifting


/******************************************/
/* shift d0 r=3 mb=5 vw0                  */
/******************************************/
label_0082: // r3 mb5 vw0 
s_mov_b32 s10, 9                                   // 
_v_cmpx_eq_u32 s[10:11], v100, s10                 // is thread in edge glvw region
v_and_b32 v96, 63, v[vgprSerial]                   // permute register between threads
v_lshlrev_b32 v96, 2, v96                          // permute register between threads
v_mov_b32 v101, v21                                // glvw 3 mb 5 tt1 0 r 0
v_mov_b32 v102, v22                                // glvw 3 mb 5 tt1 0 r 0
	;; [unrolled: 1-line block ×3, first 2 shown]
ds_bpermute_b32 v101, v96, v101, offset:128        // permute edge values
ds_bpermute_b32 v102, v96, v102, offset:128        // permute edge values
	;; [unrolled: 1-line block ×3, first 2 shown]
s_waitcnt 0                                        // wait for swizzle operation
v_mov_b32 v20, v101                                // 
v_mov_b32 v21, v102                                // 
	;; [unrolled: 1-line block ×3, first 2 shown]
v_mov_b32 v101, v69                                // glvw 3 mb 5 tt1 1 r 0
v_mov_b32 v102, v70                                // glvw 3 mb 5 tt1 1 r 0
	;; [unrolled: 1-line block ×3, first 2 shown]
ds_bpermute_b32 v101, v96, v101, offset:128        // permute edge values
ds_bpermute_b32 v102, v96, v102, offset:128        // permute edge values
	;; [unrolled: 1-line block ×3, first 2 shown]
s_waitcnt 0                                        // wait for swizzle operation
v_mov_b32 v68, v101                                // 
v_mov_b32 v69, v102                                // 
	;; [unrolled: 1-line block ×3, first 2 shown]
s_mov_b64 s[10:11], 0xFFFFFFFFFFFFFFFF             // to restore all threads active
s_or_saveexec_b64 vcc, s[10:11]                    // all threads active
s_branch label_0195                                // done shifting


/******************************************/
/* shift d0 r=3 mb=6 vw0                  */
/******************************************/
label_0084: // r3 mb6 vw0 
s_mov_b32 s10, 10                                  // 
_v_cmpx_eq_u32 s[10:11], v100, s10                 // is thread in edge glvw region
v_and_b32 v96, 63, v[vgprSerial]                   // permute register between threads
v_lshlrev_b32 v96, 2, v96                          // permute register between threads
v_mov_b32 v101, v25                                // glvw 3 mb 6 tt1 0 r 0
v_mov_b32 v102, v26                                // glvw 3 mb 6 tt1 0 r 0
	;; [unrolled: 1-line block ×3, first 2 shown]
ds_bpermute_b32 v101, v96, v101, offset:128        // permute edge values
ds_bpermute_b32 v102, v96, v102, offset:128        // permute edge values
	;; [unrolled: 1-line block ×3, first 2 shown]
s_waitcnt 0                                        // wait for swizzle operation
v_mov_b32 v24, v101                                // 
v_mov_b32 v25, v102                                // 
	;; [unrolled: 1-line block ×3, first 2 shown]
v_mov_b32 v101, v73                                // glvw 3 mb 6 tt1 1 r 0
v_mov_b32 v102, v74                                // glvw 3 mb 6 tt1 1 r 0
	;; [unrolled: 1-line block ×3, first 2 shown]
ds_bpermute_b32 v101, v96, v101, offset:128        // permute edge values
ds_bpermute_b32 v102, v96, v102, offset:128        // permute edge values
	;; [unrolled: 1-line block ×3, first 2 shown]
s_waitcnt 0                                        // wait for swizzle operation
v_mov_b32 v72, v101                                // 
v_mov_b32 v73, v102                                // 
	;; [unrolled: 1-line block ×3, first 2 shown]
s_mov_b64 s[10:11], 0xFFFFFFFFFFFFFFFF             // to restore all threads active
s_or_saveexec_b64 vcc, s[10:11]                    // all threads active
s_branch label_0195                                // done shifting


/******************************************/
/* shift d0 r=3 mb=7 vw0                  */
/******************************************/
label_0086: // r3 mb7 vw0 
s_mov_b32 s10, 11                                  // 
_v_cmpx_eq_u32 s[10:11], v100, s10                 // is thread in edge glvw region
v_and_b32 v96, 63, v[vgprSerial]                   // permute register between threads
v_lshlrev_b32 v96, 2, v96                          // permute register between threads
v_mov_b32 v101, v29                                // glvw 3 mb 7 tt1 0 r 0
v_mov_b32 v102, v30                                // glvw 3 mb 7 tt1 0 r 0
	;; [unrolled: 1-line block ×3, first 2 shown]
ds_bpermute_b32 v101, v96, v101, offset:128        // permute edge values
ds_bpermute_b32 v102, v96, v102, offset:128        // permute edge values
	;; [unrolled: 1-line block ×3, first 2 shown]
s_waitcnt 0                                        // wait for swizzle operation
v_mov_b32 v28, v101                                // 
v_mov_b32 v29, v102                                // 
	;; [unrolled: 1-line block ×3, first 2 shown]
v_mov_b32 v101, v77                                // glvw 3 mb 7 tt1 1 r 0
v_mov_b32 v102, v78                                // glvw 3 mb 7 tt1 1 r 0
	;; [unrolled: 1-line block ×3, first 2 shown]
ds_bpermute_b32 v101, v96, v101, offset:128        // permute edge values
ds_bpermute_b32 v102, v96, v102, offset:128        // permute edge values
	;; [unrolled: 1-line block ×3, first 2 shown]
s_waitcnt 0                                        // wait for swizzle operation
v_mov_b32 v76, v101                                // 
v_mov_b32 v77, v102                                // 
	;; [unrolled: 1-line block ×3, first 2 shown]
s_mov_b64 s[10:11], 0xFFFFFFFFFFFFFFFF             // to restore all threads active
s_or_saveexec_b64 vcc, s[10:11]                    // all threads active
s_branch label_0195                                // done shifting


/******************************************/
/* shift d0 r=3 mb=8 vw0                  */
/******************************************/
label_0088: // r3 mb8 vw0 
s_mov_b32 s10, 16                                  // 
_v_cmpx_eq_u32 s[10:11], v100, s10                 // is thread in edge glvw region
v_and_b32 v96, 63, v[vgprSerial]                   // permute register between threads
v_lshlrev_b32 v96, 2, v96                          // permute register between threads
v_mov_b32 v101, v33                                // glvw 3 mb 8 tt1 0 r 0
v_mov_b32 v102, v34                                // glvw 3 mb 8 tt1 0 r 0
v_mov_b32 v103, v35                                // glvw 3 mb 8 tt1 0 r 0
ds_bpermute_b32 v101, v96, v101, offset:128        // permute edge values
ds_bpermute_b32 v102, v96, v102, offset:128        // permute edge values
	;; [unrolled: 1-line block ×3, first 2 shown]
s_waitcnt 0                                        // wait for swizzle operation
v_mov_b32 v32, v101                                // 
v_mov_b32 v33, v102                                // 
	;; [unrolled: 1-line block ×3, first 2 shown]
v_mov_b32 v101, v81                                // glvw 3 mb 8 tt1 1 r 0
v_mov_b32 v102, v82                                // glvw 3 mb 8 tt1 1 r 0
	;; [unrolled: 1-line block ×3, first 2 shown]
ds_bpermute_b32 v101, v96, v101, offset:128        // permute edge values
ds_bpermute_b32 v102, v96, v102, offset:128        // permute edge values
	;; [unrolled: 1-line block ×3, first 2 shown]
s_waitcnt 0                                        // wait for swizzle operation
v_mov_b32 v80, v101                                // 
v_mov_b32 v81, v102                                // 
	;; [unrolled: 1-line block ×3, first 2 shown]
s_mov_b64 s[10:11], 0xFFFFFFFFFFFFFFFF             // to restore all threads active
s_or_saveexec_b64 vcc, s[10:11]                    // all threads active
s_branch label_0195                                // done shifting


/******************************************/
/* shift d0 r=3 mb=9 vw0                  */
/******************************************/
label_0090: // r3 mb9 vw0 
s_mov_b32 s10, 17                                  // 
_v_cmpx_eq_u32 s[10:11], v100, s10                 // is thread in edge glvw region
v_and_b32 v96, 63, v[vgprSerial]                   // permute register between threads
v_lshlrev_b32 v96, 2, v96                          // permute register between threads
v_mov_b32 v101, v37                                // glvw 3 mb 9 tt1 0 r 0
v_mov_b32 v102, v38                                // glvw 3 mb 9 tt1 0 r 0
	;; [unrolled: 1-line block ×3, first 2 shown]
ds_bpermute_b32 v101, v96, v101, offset:128        // permute edge values
ds_bpermute_b32 v102, v96, v102, offset:128        // permute edge values
	;; [unrolled: 1-line block ×3, first 2 shown]
s_waitcnt 0                                        // wait for swizzle operation
v_mov_b32 v36, v101                                // 
v_mov_b32 v37, v102                                // 
	;; [unrolled: 1-line block ×3, first 2 shown]
v_mov_b32 v101, v85                                // glvw 3 mb 9 tt1 1 r 0
v_mov_b32 v102, v86                                // glvw 3 mb 9 tt1 1 r 0
	;; [unrolled: 1-line block ×3, first 2 shown]
ds_bpermute_b32 v101, v96, v101, offset:128        // permute edge values
ds_bpermute_b32 v102, v96, v102, offset:128        // permute edge values
	;; [unrolled: 1-line block ×3, first 2 shown]
s_waitcnt 0                                        // wait for swizzle operation
v_mov_b32 v84, v101                                // 
v_mov_b32 v85, v102                                // 
	;; [unrolled: 1-line block ×3, first 2 shown]
s_mov_b64 s[10:11], 0xFFFFFFFFFFFFFFFF             // to restore all threads active
s_or_saveexec_b64 vcc, s[10:11]                    // all threads active
s_branch label_0195                                // done shifting


/******************************************/
/* shift d0 r=3 mb=10 vw0                 */
/******************************************/
label_0092: // r3 mb10 vw0 
s_mov_b32 s10, 18                                  // 
_v_cmpx_eq_u32 s[10:11], v100, s10                 // is thread in edge glvw region
v_and_b32 v96, 63, v[vgprSerial]                   // permute register between threads
v_lshlrev_b32 v96, 2, v96                          // permute register between threads
v_mov_b32 v101, v41                                // glvw 3 mb 10 tt1 0 r 0
v_mov_b32 v102, v42                                // glvw 3 mb 10 tt1 0 r 0
	;; [unrolled: 1-line block ×3, first 2 shown]
ds_bpermute_b32 v101, v96, v101, offset:128        // permute edge values
ds_bpermute_b32 v102, v96, v102, offset:128        // permute edge values
	;; [unrolled: 1-line block ×3, first 2 shown]
s_waitcnt 0                                        // wait for swizzle operation
v_mov_b32 v40, v101                                // 
v_mov_b32 v41, v102                                // 
	;; [unrolled: 1-line block ×3, first 2 shown]
v_mov_b32 v101, v89                                // glvw 3 mb 10 tt1 1 r 0
v_mov_b32 v102, v90                                // glvw 3 mb 10 tt1 1 r 0
	;; [unrolled: 1-line block ×3, first 2 shown]
ds_bpermute_b32 v101, v96, v101, offset:128        // permute edge values
ds_bpermute_b32 v102, v96, v102, offset:128        // permute edge values
	;; [unrolled: 1-line block ×3, first 2 shown]
s_waitcnt 0                                        // wait for swizzle operation
v_mov_b32 v88, v101                                // 
v_mov_b32 v89, v102                                // 
	;; [unrolled: 1-line block ×3, first 2 shown]
s_mov_b64 s[10:11], 0xFFFFFFFFFFFFFFFF             // to restore all threads active
s_or_saveexec_b64 vcc, s[10:11]                    // all threads active
s_branch label_0195                                // done shifting


/******************************************/
/* shift d0 r=3 mb=11 vw0                 */
/******************************************/
label_0094: // r3 mb11 vw0 
s_mov_b32 s10, 19                                  // 
_v_cmpx_eq_u32 s[10:11], v100, s10                 // is thread in edge glvw region
v_and_b32 v96, 63, v[vgprSerial]                   // permute register between threads
v_lshlrev_b32 v96, 2, v96                          // permute register between threads
v_mov_b32 v101, v45                                // glvw 3 mb 11 tt1 0 r 0
v_mov_b32 v102, v46                                // glvw 3 mb 11 tt1 0 r 0
	;; [unrolled: 1-line block ×3, first 2 shown]
ds_bpermute_b32 v101, v96, v101, offset:128        // permute edge values
ds_bpermute_b32 v102, v96, v102, offset:128        // permute edge values
ds_bpermute_b32 v103, v96, v103, offset:128        // permute edge values
s_waitcnt 0                                        // wait for swizzle operation
v_mov_b32 v44, v101                                // 
v_mov_b32 v45, v102                                // 
	;; [unrolled: 1-line block ×3, first 2 shown]
v_mov_b32 v101, v93                                // glvw 3 mb 11 tt1 1 r 0
v_mov_b32 v102, v94                                // glvw 3 mb 11 tt1 1 r 0
	;; [unrolled: 1-line block ×3, first 2 shown]
ds_bpermute_b32 v101, v96, v101, offset:128        // permute edge values
ds_bpermute_b32 v102, v96, v102, offset:128        // permute edge values
	;; [unrolled: 1-line block ×3, first 2 shown]
s_waitcnt 0                                        // wait for swizzle operation
v_mov_b32 v92, v101                                // 
v_mov_b32 v93, v102                                // 
	;; [unrolled: 1-line block ×3, first 2 shown]
s_mov_b64 s[10:11], 0xFFFFFFFFFFFFFFFF             // to restore all threads active
s_or_saveexec_b64 vcc, s[10:11]                    // all threads active
s_branch label_0195                                // done shifting


/******************************************/
/* shift d0 r=4 mb=0 vw0                  */
/******************************************/
label_0097: // r4 mb0 vw0 
s_mov_b32 s10, 0                                   // 
_v_cmpx_eq_u32 s[10:11], v100, s10                 // is thread in edge glvw region
v_and_b32 v96, 63, v[vgprSerial]                   // permute register between threads
v_lshlrev_b32 v96, 2, v96                          // permute register between threads
v_mov_b32 v101, v0                                 // glvw 4 mb 0 tt1 0 r 0
v_mov_b32 v102, v1                                 // glvw 4 mb 0 tt1 0 r 0
	;; [unrolled: 1-line block ×4, first 2 shown]
ds_bpermute_b32 v101, v96, v101, offset:128        // permute edge values
ds_bpermute_b32 v102, v96, v102, offset:128        // permute edge values
	;; [unrolled: 1-line block ×4, first 2 shown]
s_waitcnt 0                                        // wait for swizzle operation
v_mov_b32 v0, v101                                 // 
v_mov_b32 v1, v102                                 // 
	;; [unrolled: 1-line block ×4, first 2 shown]
v_mov_b32 v101, v48                                // glvw 4 mb 0 tt1 1 r 0
v_mov_b32 v102, v49                                // glvw 4 mb 0 tt1 1 r 0
	;; [unrolled: 1-line block ×4, first 2 shown]
ds_bpermute_b32 v101, v96, v101, offset:128        // permute edge values
ds_bpermute_b32 v102, v96, v102, offset:128        // permute edge values
	;; [unrolled: 1-line block ×4, first 2 shown]
s_waitcnt 0                                        // wait for swizzle operation
v_mov_b32 v48, v101                                // 
v_mov_b32 v49, v102                                // 
	;; [unrolled: 1-line block ×4, first 2 shown]
s_mov_b64 s[10:11], 0xFFFFFFFFFFFFFFFF             // to restore all threads active
s_or_saveexec_b64 vcc, s[10:11]                    // all threads active
s_branch label_0195                                // done shifting


/******************************************/
/* shift d0 r=4 mb=1 vw0                  */
/******************************************/
label_0099: // r4 mb1 vw0 
s_mov_b32 s10, 1                                   // 
_v_cmpx_eq_u32 s[10:11], v100, s10                 // is thread in edge glvw region
v_and_b32 v96, 63, v[vgprSerial]                   // permute register between threads
v_lshlrev_b32 v96, 2, v96                          // permute register between threads
v_mov_b32 v101, v4                                 // glvw 4 mb 1 tt1 0 r 0
v_mov_b32 v102, v5                                 // glvw 4 mb 1 tt1 0 r 0
	;; [unrolled: 1-line block ×4, first 2 shown]
ds_bpermute_b32 v101, v96, v101, offset:128        // permute edge values
ds_bpermute_b32 v102, v96, v102, offset:128        // permute edge values
	;; [unrolled: 1-line block ×4, first 2 shown]
s_waitcnt 0                                        // wait for swizzle operation
v_mov_b32 v4, v101                                 // 
v_mov_b32 v5, v102                                 // 
	;; [unrolled: 1-line block ×4, first 2 shown]
v_mov_b32 v101, v52                                // glvw 4 mb 1 tt1 1 r 0
v_mov_b32 v102, v53                                // glvw 4 mb 1 tt1 1 r 0
	;; [unrolled: 1-line block ×4, first 2 shown]
ds_bpermute_b32 v101, v96, v101, offset:128        // permute edge values
ds_bpermute_b32 v102, v96, v102, offset:128        // permute edge values
	;; [unrolled: 1-line block ×4, first 2 shown]
s_waitcnt 0                                        // wait for swizzle operation
v_mov_b32 v52, v101                                // 
v_mov_b32 v53, v102                                // 
	;; [unrolled: 1-line block ×4, first 2 shown]
s_mov_b64 s[10:11], 0xFFFFFFFFFFFFFFFF             // to restore all threads active
s_or_saveexec_b64 vcc, s[10:11]                    // all threads active
s_branch label_0195                                // done shifting


/******************************************/
/* shift d0 r=4 mb=2 vw0                  */
/******************************************/
label_0101: // r4 mb2 vw0 
s_mov_b32 s10, 2                                   // 
_v_cmpx_eq_u32 s[10:11], v100, s10                 // is thread in edge glvw region
v_and_b32 v96, 63, v[vgprSerial]                   // permute register between threads
v_lshlrev_b32 v96, 2, v96                          // permute register between threads
v_mov_b32 v101, v8                                 // glvw 4 mb 2 tt1 0 r 0
v_mov_b32 v102, v9                                 // glvw 4 mb 2 tt1 0 r 0
v_mov_b32 v103, v10                                // glvw 4 mb 2 tt1 0 r 0
v_mov_b32 v104, v11                                // glvw 4 mb 2 tt1 0 r 0
ds_bpermute_b32 v101, v96, v101, offset:128        // permute edge values
ds_bpermute_b32 v102, v96, v102, offset:128        // permute edge values
	;; [unrolled: 1-line block ×4, first 2 shown]
s_waitcnt 0                                        // wait for swizzle operation
v_mov_b32 v8, v101                                 // 
v_mov_b32 v9, v102                                 // 
v_mov_b32 v10, v103                                // 
v_mov_b32 v11, v104                                // 
v_mov_b32 v101, v56                                // glvw 4 mb 2 tt1 1 r 0
v_mov_b32 v102, v57                                // glvw 4 mb 2 tt1 1 r 0
	;; [unrolled: 1-line block ×4, first 2 shown]
ds_bpermute_b32 v101, v96, v101, offset:128        // permute edge values
ds_bpermute_b32 v102, v96, v102, offset:128        // permute edge values
	;; [unrolled: 1-line block ×4, first 2 shown]
s_waitcnt 0                                        // wait for swizzle operation
v_mov_b32 v56, v101                                // 
v_mov_b32 v57, v102                                // 
	;; [unrolled: 1-line block ×4, first 2 shown]
s_mov_b64 s[10:11], 0xFFFFFFFFFFFFFFFF             // to restore all threads active
s_or_saveexec_b64 vcc, s[10:11]                    // all threads active
s_branch label_0195                                // done shifting


/******************************************/
/* shift d0 r=4 mb=3 vw0                  */
/******************************************/
label_0103: // r4 mb3 vw0 
s_mov_b32 s10, 3                                   // 
_v_cmpx_eq_u32 s[10:11], v100, s10                 // is thread in edge glvw region
v_and_b32 v96, 63, v[vgprSerial]                   // permute register between threads
v_lshlrev_b32 v96, 2, v96                          // permute register between threads
v_mov_b32 v101, v12                                // glvw 4 mb 3 tt1 0 r 0
v_mov_b32 v102, v13                                // glvw 4 mb 3 tt1 0 r 0
	;; [unrolled: 1-line block ×4, first 2 shown]
ds_bpermute_b32 v101, v96, v101, offset:128        // permute edge values
ds_bpermute_b32 v102, v96, v102, offset:128        // permute edge values
	;; [unrolled: 1-line block ×4, first 2 shown]
s_waitcnt 0                                        // wait for swizzle operation
v_mov_b32 v12, v101                                // 
v_mov_b32 v13, v102                                // 
	;; [unrolled: 1-line block ×4, first 2 shown]
v_mov_b32 v101, v60                                // glvw 4 mb 3 tt1 1 r 0
v_mov_b32 v102, v61                                // glvw 4 mb 3 tt1 1 r 0
v_mov_b32 v103, v62                                // glvw 4 mb 3 tt1 1 r 0
v_mov_b32 v104, v63                                // glvw 4 mb 3 tt1 1 r 0
ds_bpermute_b32 v101, v96, v101, offset:128        // permute edge values
ds_bpermute_b32 v102, v96, v102, offset:128        // permute edge values
	;; [unrolled: 1-line block ×4, first 2 shown]
s_waitcnt 0                                        // wait for swizzle operation
v_mov_b32 v60, v101                                // 
v_mov_b32 v61, v102                                // 
	;; [unrolled: 1-line block ×4, first 2 shown]
s_mov_b64 s[10:11], 0xFFFFFFFFFFFFFFFF             // to restore all threads active
s_or_saveexec_b64 vcc, s[10:11]                    // all threads active
s_branch label_0195                                // done shifting


/******************************************/
/* shift d0 r=4 mb=4 vw0                  */
/******************************************/
label_0105: // r4 mb4 vw0 
s_mov_b32 s10, 8                                   // 
_v_cmpx_eq_u32 s[10:11], v100, s10                 // is thread in edge glvw region
v_and_b32 v96, 63, v[vgprSerial]                   // permute register between threads
v_lshlrev_b32 v96, 2, v96                          // permute register between threads
v_mov_b32 v101, v16                                // glvw 4 mb 4 tt1 0 r 0
v_mov_b32 v102, v17                                // glvw 4 mb 4 tt1 0 r 0
	;; [unrolled: 1-line block ×4, first 2 shown]
ds_bpermute_b32 v101, v96, v101, offset:128        // permute edge values
ds_bpermute_b32 v102, v96, v102, offset:128        // permute edge values
	;; [unrolled: 1-line block ×4, first 2 shown]
s_waitcnt 0                                        // wait for swizzle operation
v_mov_b32 v16, v101                                // 
v_mov_b32 v17, v102                                // 
	;; [unrolled: 1-line block ×4, first 2 shown]
v_mov_b32 v101, v64                                // glvw 4 mb 4 tt1 1 r 0
v_mov_b32 v102, v65                                // glvw 4 mb 4 tt1 1 r 0
	;; [unrolled: 1-line block ×4, first 2 shown]
ds_bpermute_b32 v101, v96, v101, offset:128        // permute edge values
ds_bpermute_b32 v102, v96, v102, offset:128        // permute edge values
	;; [unrolled: 1-line block ×4, first 2 shown]
s_waitcnt 0                                        // wait for swizzle operation
v_mov_b32 v64, v101                                // 
v_mov_b32 v65, v102                                // 
	;; [unrolled: 1-line block ×4, first 2 shown]
s_mov_b64 s[10:11], 0xFFFFFFFFFFFFFFFF             // to restore all threads active
s_or_saveexec_b64 vcc, s[10:11]                    // all threads active
s_branch label_0195                                // done shifting


/******************************************/
/* shift d0 r=4 mb=5 vw0                  */
/******************************************/
label_0107: // r4 mb5 vw0 
s_mov_b32 s10, 9                                   // 
_v_cmpx_eq_u32 s[10:11], v100, s10                 // is thread in edge glvw region
v_and_b32 v96, 63, v[vgprSerial]                   // permute register between threads
v_lshlrev_b32 v96, 2, v96                          // permute register between threads
v_mov_b32 v101, v20                                // glvw 4 mb 5 tt1 0 r 0
v_mov_b32 v102, v21                                // glvw 4 mb 5 tt1 0 r 0
	;; [unrolled: 1-line block ×4, first 2 shown]
ds_bpermute_b32 v101, v96, v101, offset:128        // permute edge values
ds_bpermute_b32 v102, v96, v102, offset:128        // permute edge values
	;; [unrolled: 1-line block ×4, first 2 shown]
s_waitcnt 0                                        // wait for swizzle operation
v_mov_b32 v20, v101                                // 
v_mov_b32 v21, v102                                // 
	;; [unrolled: 1-line block ×4, first 2 shown]
v_mov_b32 v101, v68                                // glvw 4 mb 5 tt1 1 r 0
v_mov_b32 v102, v69                                // glvw 4 mb 5 tt1 1 r 0
	;; [unrolled: 1-line block ×4, first 2 shown]
ds_bpermute_b32 v101, v96, v101, offset:128        // permute edge values
ds_bpermute_b32 v102, v96, v102, offset:128        // permute edge values
	;; [unrolled: 1-line block ×4, first 2 shown]
s_waitcnt 0                                        // wait for swizzle operation
v_mov_b32 v68, v101                                // 
v_mov_b32 v69, v102                                // 
	;; [unrolled: 1-line block ×4, first 2 shown]
s_mov_b64 s[10:11], 0xFFFFFFFFFFFFFFFF             // to restore all threads active
s_or_saveexec_b64 vcc, s[10:11]                    // all threads active
s_branch label_0195                                // done shifting


/******************************************/
/* shift d0 r=4 mb=6 vw0                  */
/******************************************/
label_0109: // r4 mb6 vw0 
s_mov_b32 s10, 10                                  // 
_v_cmpx_eq_u32 s[10:11], v100, s10                 // is thread in edge glvw region
v_and_b32 v96, 63, v[vgprSerial]                   // permute register between threads
v_lshlrev_b32 v96, 2, v96                          // permute register between threads
v_mov_b32 v101, v24                                // glvw 4 mb 6 tt1 0 r 0
v_mov_b32 v102, v25                                // glvw 4 mb 6 tt1 0 r 0
	;; [unrolled: 1-line block ×4, first 2 shown]
ds_bpermute_b32 v101, v96, v101, offset:128        // permute edge values
ds_bpermute_b32 v102, v96, v102, offset:128        // permute edge values
	;; [unrolled: 1-line block ×4, first 2 shown]
s_waitcnt 0                                        // wait for swizzle operation
v_mov_b32 v24, v101                                // 
v_mov_b32 v25, v102                                // 
	;; [unrolled: 1-line block ×4, first 2 shown]
v_mov_b32 v101, v72                                // glvw 4 mb 6 tt1 1 r 0
v_mov_b32 v102, v73                                // glvw 4 mb 6 tt1 1 r 0
v_mov_b32 v103, v74                                // glvw 4 mb 6 tt1 1 r 0
v_mov_b32 v104, v75                                // glvw 4 mb 6 tt1 1 r 0
ds_bpermute_b32 v101, v96, v101, offset:128        // permute edge values
ds_bpermute_b32 v102, v96, v102, offset:128        // permute edge values
	;; [unrolled: 1-line block ×4, first 2 shown]
s_waitcnt 0                                        // wait for swizzle operation
v_mov_b32 v72, v101                                // 
v_mov_b32 v73, v102                                // 
	;; [unrolled: 1-line block ×4, first 2 shown]
s_mov_b64 s[10:11], 0xFFFFFFFFFFFFFFFF             // to restore all threads active
s_or_saveexec_b64 vcc, s[10:11]                    // all threads active
s_branch label_0195                                // done shifting


/******************************************/
/* shift d0 r=4 mb=7 vw0                  */
/******************************************/
label_0111: // r4 mb7 vw0 
s_mov_b32 s10, 11                                  // 
_v_cmpx_eq_u32 s[10:11], v100, s10                 // is thread in edge glvw region
v_and_b32 v96, 63, v[vgprSerial]                   // permute register between threads
v_lshlrev_b32 v96, 2, v96                          // permute register between threads
v_mov_b32 v101, v28                                // glvw 4 mb 7 tt1 0 r 0
v_mov_b32 v102, v29                                // glvw 4 mb 7 tt1 0 r 0
v_mov_b32 v103, v30                                // glvw 4 mb 7 tt1 0 r 0
v_mov_b32 v104, v31                                // glvw 4 mb 7 tt1 0 r 0
ds_bpermute_b32 v101, v96, v101, offset:128        // permute edge values
ds_bpermute_b32 v102, v96, v102, offset:128        // permute edge values
	;; [unrolled: 1-line block ×4, first 2 shown]
s_waitcnt 0                                        // wait for swizzle operation
v_mov_b32 v28, v101                                // 
v_mov_b32 v29, v102                                // 
	;; [unrolled: 1-line block ×4, first 2 shown]
v_mov_b32 v101, v76                                // glvw 4 mb 7 tt1 1 r 0
v_mov_b32 v102, v77                                // glvw 4 mb 7 tt1 1 r 0
	;; [unrolled: 1-line block ×4, first 2 shown]
ds_bpermute_b32 v101, v96, v101, offset:128        // permute edge values
ds_bpermute_b32 v102, v96, v102, offset:128        // permute edge values
	;; [unrolled: 1-line block ×4, first 2 shown]
s_waitcnt 0                                        // wait for swizzle operation
v_mov_b32 v76, v101                                // 
v_mov_b32 v77, v102                                // 
	;; [unrolled: 1-line block ×4, first 2 shown]
s_mov_b64 s[10:11], 0xFFFFFFFFFFFFFFFF             // to restore all threads active
s_or_saveexec_b64 vcc, s[10:11]                    // all threads active
s_branch label_0195                                // done shifting


/******************************************/
/* shift d0 r=4 mb=8 vw0                  */
/******************************************/
label_0113: // r4 mb8 vw0 
s_mov_b32 s10, 16                                  // 
_v_cmpx_eq_u32 s[10:11], v100, s10                 // is thread in edge glvw region
v_and_b32 v96, 63, v[vgprSerial]                   // permute register between threads
v_lshlrev_b32 v96, 2, v96                          // permute register between threads
v_mov_b32 v101, v32                                // glvw 4 mb 8 tt1 0 r 0
v_mov_b32 v102, v33                                // glvw 4 mb 8 tt1 0 r 0
	;; [unrolled: 1-line block ×4, first 2 shown]
ds_bpermute_b32 v101, v96, v101, offset:128        // permute edge values
ds_bpermute_b32 v102, v96, v102, offset:128        // permute edge values
	;; [unrolled: 1-line block ×4, first 2 shown]
s_waitcnt 0                                        // wait for swizzle operation
v_mov_b32 v32, v101                                // 
v_mov_b32 v33, v102                                // 
	;; [unrolled: 1-line block ×4, first 2 shown]
v_mov_b32 v101, v80                                // glvw 4 mb 8 tt1 1 r 0
v_mov_b32 v102, v81                                // glvw 4 mb 8 tt1 1 r 0
	;; [unrolled: 1-line block ×4, first 2 shown]
ds_bpermute_b32 v101, v96, v101, offset:128        // permute edge values
ds_bpermute_b32 v102, v96, v102, offset:128        // permute edge values
	;; [unrolled: 1-line block ×4, first 2 shown]
s_waitcnt 0                                        // wait for swizzle operation
v_mov_b32 v80, v101                                // 
v_mov_b32 v81, v102                                // 
	;; [unrolled: 1-line block ×4, first 2 shown]
s_mov_b64 s[10:11], 0xFFFFFFFFFFFFFFFF             // to restore all threads active
s_or_saveexec_b64 vcc, s[10:11]                    // all threads active
s_branch label_0195                                // done shifting


/******************************************/
/* shift d0 r=4 mb=9 vw0                  */
/******************************************/
label_0115: // r4 mb9 vw0 
s_mov_b32 s10, 17                                  // 
_v_cmpx_eq_u32 s[10:11], v100, s10                 // is thread in edge glvw region
v_and_b32 v96, 63, v[vgprSerial]                   // permute register between threads
v_lshlrev_b32 v96, 2, v96                          // permute register between threads
v_mov_b32 v101, v36                                // glvw 4 mb 9 tt1 0 r 0
v_mov_b32 v102, v37                                // glvw 4 mb 9 tt1 0 r 0
	;; [unrolled: 1-line block ×4, first 2 shown]
ds_bpermute_b32 v101, v96, v101, offset:128        // permute edge values
ds_bpermute_b32 v102, v96, v102, offset:128        // permute edge values
	;; [unrolled: 1-line block ×4, first 2 shown]
s_waitcnt 0                                        // wait for swizzle operation
v_mov_b32 v36, v101                                // 
v_mov_b32 v37, v102                                // 
	;; [unrolled: 1-line block ×4, first 2 shown]
v_mov_b32 v101, v84                                // glvw 4 mb 9 tt1 1 r 0
v_mov_b32 v102, v85                                // glvw 4 mb 9 tt1 1 r 0
	;; [unrolled: 1-line block ×4, first 2 shown]
ds_bpermute_b32 v101, v96, v101, offset:128        // permute edge values
ds_bpermute_b32 v102, v96, v102, offset:128        // permute edge values
	;; [unrolled: 1-line block ×4, first 2 shown]
s_waitcnt 0                                        // wait for swizzle operation
v_mov_b32 v84, v101                                // 
v_mov_b32 v85, v102                                // 
v_mov_b32 v86, v103                                // 
v_mov_b32 v87, v104                                // 
s_mov_b64 s[10:11], 0xFFFFFFFFFFFFFFFF             // to restore all threads active
s_or_saveexec_b64 vcc, s[10:11]                    // all threads active
s_branch label_0195                                // done shifting


/******************************************/
/* shift d0 r=4 mb=10 vw0                 */
/******************************************/
label_0117: // r4 mb10 vw0 
s_mov_b32 s10, 18                                  // 
_v_cmpx_eq_u32 s[10:11], v100, s10                 // is thread in edge glvw region
v_and_b32 v96, 63, v[vgprSerial]                   // permute register between threads
v_lshlrev_b32 v96, 2, v96                          // permute register between threads
v_mov_b32 v101, v40                                // glvw 4 mb 10 tt1 0 r 0
v_mov_b32 v102, v41                                // glvw 4 mb 10 tt1 0 r 0
	;; [unrolled: 1-line block ×4, first 2 shown]
ds_bpermute_b32 v101, v96, v101, offset:128        // permute edge values
ds_bpermute_b32 v102, v96, v102, offset:128        // permute edge values
	;; [unrolled: 1-line block ×4, first 2 shown]
s_waitcnt 0                                        // wait for swizzle operation
v_mov_b32 v40, v101                                // 
v_mov_b32 v41, v102                                // 
	;; [unrolled: 1-line block ×4, first 2 shown]
v_mov_b32 v101, v88                                // glvw 4 mb 10 tt1 1 r 0
v_mov_b32 v102, v89                                // glvw 4 mb 10 tt1 1 r 0
	;; [unrolled: 1-line block ×4, first 2 shown]
ds_bpermute_b32 v101, v96, v101, offset:128        // permute edge values
ds_bpermute_b32 v102, v96, v102, offset:128        // permute edge values
	;; [unrolled: 1-line block ×4, first 2 shown]
s_waitcnt 0                                        // wait for swizzle operation
v_mov_b32 v88, v101                                // 
v_mov_b32 v89, v102                                // 
	;; [unrolled: 1-line block ×4, first 2 shown]
s_mov_b64 s[10:11], 0xFFFFFFFFFFFFFFFF             // to restore all threads active
s_or_saveexec_b64 vcc, s[10:11]                    // all threads active
s_branch label_0195                                // done shifting


/******************************************/
/* shift d0 r=4 mb=11 vw0                 */
/******************************************/
label_0119: // r4 mb11 vw0 
s_mov_b32 s10, 19                                  // 
_v_cmpx_eq_u32 s[10:11], v100, s10                 // is thread in edge glvw region
v_and_b32 v96, 63, v[vgprSerial]                   // permute register between threads
v_lshlrev_b32 v96, 2, v96                          // permute register between threads
v_mov_b32 v101, v44                                // glvw 4 mb 11 tt1 0 r 0
v_mov_b32 v102, v45                                // glvw 4 mb 11 tt1 0 r 0
	;; [unrolled: 1-line block ×4, first 2 shown]
ds_bpermute_b32 v101, v96, v101, offset:128        // permute edge values
ds_bpermute_b32 v102, v96, v102, offset:128        // permute edge values
	;; [unrolled: 1-line block ×4, first 2 shown]
s_waitcnt 0                                        // wait for swizzle operation
v_mov_b32 v44, v101                                // 
v_mov_b32 v45, v102                                // 
	;; [unrolled: 1-line block ×4, first 2 shown]
v_mov_b32 v101, v92                                // glvw 4 mb 11 tt1 1 r 0
v_mov_b32 v102, v93                                // glvw 4 mb 11 tt1 1 r 0
	;; [unrolled: 1-line block ×4, first 2 shown]
ds_bpermute_b32 v101, v96, v101, offset:128        // permute edge values
ds_bpermute_b32 v102, v96, v102, offset:128        // permute edge values
	;; [unrolled: 1-line block ×4, first 2 shown]
s_waitcnt 0                                        // wait for swizzle operation
v_mov_b32 v92, v101                                // 
v_mov_b32 v93, v102                                // 
v_mov_b32 v94, v103                                // 
v_mov_b32 v95, v104                                // 
s_mov_b64 s[10:11], 0xFFFFFFFFFFFFFFFF             // to restore all threads active
s_or_saveexec_b64 vcc, s[10:11]                    // all threads active
s_branch label_0195                                // done shifting


/******************************************/
/* shift d0 r=5 mb=0 vw0                  */
/******************************************/
label_0122: // r5 mb0 vw0 
s_mov_b32 s10, 0                                   // 
_v_cmpx_eq_u32 s[10:11], v100, s10                 // is thread in edge glvw region
v_and_b32 v96, 63, v[vgprSerial]                   // permute register between threads
v_lshlrev_b32 v96, 2, v96                          // permute register between threads
v_mov_b32 v101, v3                                 // glvw 5 mb 0 tt1 0 r 0
v_mov_b32 v102, v0                                 // glvw 5 mb 0 tt1 0 r 0
	;; [unrolled: 1-line block ×4, first 2 shown]
ds_bpermute_b32 v102, v96, v102, offset:128        // permute edge values
ds_bpermute_b32 v103, v96, v103, offset:128        // permute edge values
	;; [unrolled: 1-line block ×3, first 2 shown]
s_waitcnt 0                                        // wait for swizzle operation
v_mov_b32 v0, v101                                 // 
v_mov_b32 v1, v102                                 // 
	;; [unrolled: 1-line block ×4, first 2 shown]
v_mov_b32 v101, v51                                // glvw 5 mb 0 tt1 1 r 0
v_mov_b32 v102, v48                                // glvw 5 mb 0 tt1 1 r 0
v_mov_b32 v103, v49                                // glvw 5 mb 0 tt1 1 r 0
v_mov_b32 v104, v50                                // glvw 5 mb 0 tt1 1 r 0
ds_bpermute_b32 v102, v96, v102, offset:128        // permute edge values
ds_bpermute_b32 v103, v96, v103, offset:128        // permute edge values
	;; [unrolled: 1-line block ×3, first 2 shown]
s_waitcnt 0                                        // wait for swizzle operation
v_mov_b32 v48, v101                                // 
v_mov_b32 v49, v102                                // 
	;; [unrolled: 1-line block ×4, first 2 shown]
s_mov_b64 s[10:11], 0xFFFFFFFFFFFFFFFF             // to restore all threads active
s_or_saveexec_b64 vcc, s[10:11]                    // all threads active
s_branch label_0195                                // done shifting


/******************************************/
/* shift d0 r=5 mb=1 vw0                  */
/******************************************/
label_0124: // r5 mb1 vw0 
s_mov_b32 s10, 1                                   // 
_v_cmpx_eq_u32 s[10:11], v100, s10                 // is thread in edge glvw region
v_and_b32 v96, 63, v[vgprSerial]                   // permute register between threads
v_lshlrev_b32 v96, 2, v96                          // permute register between threads
v_mov_b32 v101, v7                                 // glvw 5 mb 1 tt1 0 r 0
v_mov_b32 v102, v4                                 // glvw 5 mb 1 tt1 0 r 0
	;; [unrolled: 1-line block ×4, first 2 shown]
ds_bpermute_b32 v102, v96, v102, offset:128        // permute edge values
ds_bpermute_b32 v103, v96, v103, offset:128        // permute edge values
	;; [unrolled: 1-line block ×3, first 2 shown]
s_waitcnt 0                                        // wait for swizzle operation
v_mov_b32 v4, v101                                 // 
v_mov_b32 v5, v102                                 // 
	;; [unrolled: 1-line block ×4, first 2 shown]
v_mov_b32 v101, v55                                // glvw 5 mb 1 tt1 1 r 0
v_mov_b32 v102, v52                                // glvw 5 mb 1 tt1 1 r 0
	;; [unrolled: 1-line block ×4, first 2 shown]
ds_bpermute_b32 v102, v96, v102, offset:128        // permute edge values
ds_bpermute_b32 v103, v96, v103, offset:128        // permute edge values
	;; [unrolled: 1-line block ×3, first 2 shown]
s_waitcnt 0                                        // wait for swizzle operation
v_mov_b32 v52, v101                                // 
v_mov_b32 v53, v102                                // 
	;; [unrolled: 1-line block ×4, first 2 shown]
s_mov_b64 s[10:11], 0xFFFFFFFFFFFFFFFF             // to restore all threads active
s_or_saveexec_b64 vcc, s[10:11]                    // all threads active
s_branch label_0195                                // done shifting


/******************************************/
/* shift d0 r=5 mb=2 vw0                  */
/******************************************/
label_0126: // r5 mb2 vw0 
s_mov_b32 s10, 2                                   // 
_v_cmpx_eq_u32 s[10:11], v100, s10                 // is thread in edge glvw region
v_and_b32 v96, 63, v[vgprSerial]                   // permute register between threads
v_lshlrev_b32 v96, 2, v96                          // permute register between threads
v_mov_b32 v101, v11                                // glvw 5 mb 2 tt1 0 r 0
v_mov_b32 v102, v8                                 // glvw 5 mb 2 tt1 0 r 0
v_mov_b32 v103, v9                                 // glvw 5 mb 2 tt1 0 r 0
v_mov_b32 v104, v10                                // glvw 5 mb 2 tt1 0 r 0
ds_bpermute_b32 v102, v96, v102, offset:128        // permute edge values
ds_bpermute_b32 v103, v96, v103, offset:128        // permute edge values
	;; [unrolled: 1-line block ×3, first 2 shown]
s_waitcnt 0                                        // wait for swizzle operation
v_mov_b32 v8, v101                                 // 
v_mov_b32 v9, v102                                 // 
v_mov_b32 v10, v103                                // 
v_mov_b32 v11, v104                                // 
v_mov_b32 v101, v59                                // glvw 5 mb 2 tt1 1 r 0
v_mov_b32 v102, v56                                // glvw 5 mb 2 tt1 1 r 0
	;; [unrolled: 1-line block ×4, first 2 shown]
ds_bpermute_b32 v102, v96, v102, offset:128        // permute edge values
ds_bpermute_b32 v103, v96, v103, offset:128        // permute edge values
	;; [unrolled: 1-line block ×3, first 2 shown]
s_waitcnt 0                                        // wait for swizzle operation
v_mov_b32 v56, v101                                // 
v_mov_b32 v57, v102                                // 
	;; [unrolled: 1-line block ×4, first 2 shown]
s_mov_b64 s[10:11], 0xFFFFFFFFFFFFFFFF             // to restore all threads active
s_or_saveexec_b64 vcc, s[10:11]                    // all threads active
s_branch label_0195                                // done shifting


/******************************************/
/* shift d0 r=5 mb=3 vw0                  */
/******************************************/
label_0128: // r5 mb3 vw0 
s_mov_b32 s10, 3                                   // 
_v_cmpx_eq_u32 s[10:11], v100, s10                 // is thread in edge glvw region
v_and_b32 v96, 63, v[vgprSerial]                   // permute register between threads
v_lshlrev_b32 v96, 2, v96                          // permute register between threads
v_mov_b32 v101, v15                                // glvw 5 mb 3 tt1 0 r 0
v_mov_b32 v102, v12                                // glvw 5 mb 3 tt1 0 r 0
	;; [unrolled: 1-line block ×4, first 2 shown]
ds_bpermute_b32 v102, v96, v102, offset:128        // permute edge values
ds_bpermute_b32 v103, v96, v103, offset:128        // permute edge values
	;; [unrolled: 1-line block ×3, first 2 shown]
s_waitcnt 0                                        // wait for swizzle operation
v_mov_b32 v12, v101                                // 
v_mov_b32 v13, v102                                // 
	;; [unrolled: 1-line block ×4, first 2 shown]
v_mov_b32 v101, v63                                // glvw 5 mb 3 tt1 1 r 0
v_mov_b32 v102, v60                                // glvw 5 mb 3 tt1 1 r 0
	;; [unrolled: 1-line block ×4, first 2 shown]
ds_bpermute_b32 v102, v96, v102, offset:128        // permute edge values
ds_bpermute_b32 v103, v96, v103, offset:128        // permute edge values
	;; [unrolled: 1-line block ×3, first 2 shown]
s_waitcnt 0                                        // wait for swizzle operation
v_mov_b32 v60, v101                                // 
v_mov_b32 v61, v102                                // 
	;; [unrolled: 1-line block ×4, first 2 shown]
s_mov_b64 s[10:11], 0xFFFFFFFFFFFFFFFF             // to restore all threads active
s_or_saveexec_b64 vcc, s[10:11]                    // all threads active
s_branch label_0195                                // done shifting


/******************************************/
/* shift d0 r=5 mb=4 vw0                  */
/******************************************/
label_0130: // r5 mb4 vw0 
s_mov_b32 s10, 8                                   // 
_v_cmpx_eq_u32 s[10:11], v100, s10                 // is thread in edge glvw region
v_and_b32 v96, 63, v[vgprSerial]                   // permute register between threads
v_lshlrev_b32 v96, 2, v96                          // permute register between threads
v_mov_b32 v101, v19                                // glvw 5 mb 4 tt1 0 r 0
v_mov_b32 v102, v16                                // glvw 5 mb 4 tt1 0 r 0
	;; [unrolled: 1-line block ×4, first 2 shown]
ds_bpermute_b32 v102, v96, v102, offset:128        // permute edge values
ds_bpermute_b32 v103, v96, v103, offset:128        // permute edge values
ds_bpermute_b32 v104, v96, v104, offset:128        // permute edge values
s_waitcnt 0                                        // wait for swizzle operation
v_mov_b32 v16, v101                                // 
v_mov_b32 v17, v102                                // 
	;; [unrolled: 1-line block ×4, first 2 shown]
v_mov_b32 v101, v67                                // glvw 5 mb 4 tt1 1 r 0
v_mov_b32 v102, v64                                // glvw 5 mb 4 tt1 1 r 0
	;; [unrolled: 1-line block ×4, first 2 shown]
ds_bpermute_b32 v102, v96, v102, offset:128        // permute edge values
ds_bpermute_b32 v103, v96, v103, offset:128        // permute edge values
	;; [unrolled: 1-line block ×3, first 2 shown]
s_waitcnt 0                                        // wait for swizzle operation
v_mov_b32 v64, v101                                // 
v_mov_b32 v65, v102                                // 
	;; [unrolled: 1-line block ×4, first 2 shown]
s_mov_b64 s[10:11], 0xFFFFFFFFFFFFFFFF             // to restore all threads active
s_or_saveexec_b64 vcc, s[10:11]                    // all threads active
s_branch label_0195                                // done shifting


/******************************************/
/* shift d0 r=5 mb=5 vw0                  */
/******************************************/
label_0132: // r5 mb5 vw0 
s_mov_b32 s10, 9                                   // 
_v_cmpx_eq_u32 s[10:11], v100, s10                 // is thread in edge glvw region
v_and_b32 v96, 63, v[vgprSerial]                   // permute register between threads
v_lshlrev_b32 v96, 2, v96                          // permute register between threads
v_mov_b32 v101, v23                                // glvw 5 mb 5 tt1 0 r 0
v_mov_b32 v102, v20                                // glvw 5 mb 5 tt1 0 r 0
v_mov_b32 v103, v21                                // glvw 5 mb 5 tt1 0 r 0
v_mov_b32 v104, v22                                // glvw 5 mb 5 tt1 0 r 0
ds_bpermute_b32 v102, v96, v102, offset:128        // permute edge values
ds_bpermute_b32 v103, v96, v103, offset:128        // permute edge values
	;; [unrolled: 1-line block ×3, first 2 shown]
s_waitcnt 0                                        // wait for swizzle operation
v_mov_b32 v20, v101                                // 
v_mov_b32 v21, v102                                // 
	;; [unrolled: 1-line block ×4, first 2 shown]
v_mov_b32 v101, v71                                // glvw 5 mb 5 tt1 1 r 0
v_mov_b32 v102, v68                                // glvw 5 mb 5 tt1 1 r 0
	;; [unrolled: 1-line block ×4, first 2 shown]
ds_bpermute_b32 v102, v96, v102, offset:128        // permute edge values
ds_bpermute_b32 v103, v96, v103, offset:128        // permute edge values
	;; [unrolled: 1-line block ×3, first 2 shown]
s_waitcnt 0                                        // wait for swizzle operation
v_mov_b32 v68, v101                                // 
v_mov_b32 v69, v102                                // 
	;; [unrolled: 1-line block ×4, first 2 shown]
s_mov_b64 s[10:11], 0xFFFFFFFFFFFFFFFF             // to restore all threads active
s_or_saveexec_b64 vcc, s[10:11]                    // all threads active
s_branch label_0195                                // done shifting


/******************************************/
/* shift d0 r=5 mb=6 vw0                  */
/******************************************/
label_0134: // r5 mb6 vw0 
s_mov_b32 s10, 10                                  // 
_v_cmpx_eq_u32 s[10:11], v100, s10                 // is thread in edge glvw region
v_and_b32 v96, 63, v[vgprSerial]                   // permute register between threads
v_lshlrev_b32 v96, 2, v96                          // permute register between threads
v_mov_b32 v101, v27                                // glvw 5 mb 6 tt1 0 r 0
v_mov_b32 v102, v24                                // glvw 5 mb 6 tt1 0 r 0
	;; [unrolled: 1-line block ×4, first 2 shown]
ds_bpermute_b32 v102, v96, v102, offset:128        // permute edge values
ds_bpermute_b32 v103, v96, v103, offset:128        // permute edge values
ds_bpermute_b32 v104, v96, v104, offset:128        // permute edge values
s_waitcnt 0                                        // wait for swizzle operation
v_mov_b32 v24, v101                                // 
v_mov_b32 v25, v102                                // 
	;; [unrolled: 1-line block ×4, first 2 shown]
v_mov_b32 v101, v75                                // glvw 5 mb 6 tt1 1 r 0
v_mov_b32 v102, v72                                // glvw 5 mb 6 tt1 1 r 0
	;; [unrolled: 1-line block ×4, first 2 shown]
ds_bpermute_b32 v102, v96, v102, offset:128        // permute edge values
ds_bpermute_b32 v103, v96, v103, offset:128        // permute edge values
	;; [unrolled: 1-line block ×3, first 2 shown]
s_waitcnt 0                                        // wait for swizzle operation
v_mov_b32 v72, v101                                // 
v_mov_b32 v73, v102                                // 
v_mov_b32 v74, v103                                // 
v_mov_b32 v75, v104                                // 
s_mov_b64 s[10:11], 0xFFFFFFFFFFFFFFFF             // to restore all threads active
s_or_saveexec_b64 vcc, s[10:11]                    // all threads active
s_branch label_0195                                // done shifting


/******************************************/
/* shift d0 r=5 mb=7 vw0                  */
/******************************************/
label_0136: // r5 mb7 vw0 
s_mov_b32 s10, 11                                  // 
_v_cmpx_eq_u32 s[10:11], v100, s10                 // is thread in edge glvw region
v_and_b32 v96, 63, v[vgprSerial]                   // permute register between threads
v_lshlrev_b32 v96, 2, v96                          // permute register between threads
v_mov_b32 v101, v31                                // glvw 5 mb 7 tt1 0 r 0
v_mov_b32 v102, v28                                // glvw 5 mb 7 tt1 0 r 0
	;; [unrolled: 1-line block ×4, first 2 shown]
ds_bpermute_b32 v102, v96, v102, offset:128        // permute edge values
ds_bpermute_b32 v103, v96, v103, offset:128        // permute edge values
	;; [unrolled: 1-line block ×3, first 2 shown]
s_waitcnt 0                                        // wait for swizzle operation
v_mov_b32 v28, v101                                // 
v_mov_b32 v29, v102                                // 
	;; [unrolled: 1-line block ×4, first 2 shown]
v_mov_b32 v101, v79                                // glvw 5 mb 7 tt1 1 r 0
v_mov_b32 v102, v76                                // glvw 5 mb 7 tt1 1 r 0
	;; [unrolled: 1-line block ×4, first 2 shown]
ds_bpermute_b32 v102, v96, v102, offset:128        // permute edge values
ds_bpermute_b32 v103, v96, v103, offset:128        // permute edge values
	;; [unrolled: 1-line block ×3, first 2 shown]
s_waitcnt 0                                        // wait for swizzle operation
v_mov_b32 v76, v101                                // 
v_mov_b32 v77, v102                                // 
	;; [unrolled: 1-line block ×4, first 2 shown]
s_mov_b64 s[10:11], 0xFFFFFFFFFFFFFFFF             // to restore all threads active
s_or_saveexec_b64 vcc, s[10:11]                    // all threads active
s_branch label_0195                                // done shifting


/******************************************/
/* shift d0 r=5 mb=8 vw0                  */
/******************************************/
label_0138: // r5 mb8 vw0 
s_mov_b32 s10, 16                                  // 
_v_cmpx_eq_u32 s[10:11], v100, s10                 // is thread in edge glvw region
v_and_b32 v96, 63, v[vgprSerial]                   // permute register between threads
v_lshlrev_b32 v96, 2, v96                          // permute register between threads
v_mov_b32 v101, v35                                // glvw 5 mb 8 tt1 0 r 0
v_mov_b32 v102, v32                                // glvw 5 mb 8 tt1 0 r 0
	;; [unrolled: 1-line block ×4, first 2 shown]
ds_bpermute_b32 v102, v96, v102, offset:128        // permute edge values
ds_bpermute_b32 v103, v96, v103, offset:128        // permute edge values
	;; [unrolled: 1-line block ×3, first 2 shown]
s_waitcnt 0                                        // wait for swizzle operation
v_mov_b32 v32, v101                                // 
v_mov_b32 v33, v102                                // 
	;; [unrolled: 1-line block ×4, first 2 shown]
v_mov_b32 v101, v83                                // glvw 5 mb 8 tt1 1 r 0
v_mov_b32 v102, v80                                // glvw 5 mb 8 tt1 1 r 0
	;; [unrolled: 1-line block ×4, first 2 shown]
ds_bpermute_b32 v102, v96, v102, offset:128        // permute edge values
ds_bpermute_b32 v103, v96, v103, offset:128        // permute edge values
	;; [unrolled: 1-line block ×3, first 2 shown]
s_waitcnt 0                                        // wait for swizzle operation
v_mov_b32 v80, v101                                // 
v_mov_b32 v81, v102                                // 
	;; [unrolled: 1-line block ×4, first 2 shown]
s_mov_b64 s[10:11], 0xFFFFFFFFFFFFFFFF             // to restore all threads active
s_or_saveexec_b64 vcc, s[10:11]                    // all threads active
s_branch label_0195                                // done shifting


/******************************************/
/* shift d0 r=5 mb=9 vw0                  */
/******************************************/
label_0140: // r5 mb9 vw0 
s_mov_b32 s10, 17                                  // 
_v_cmpx_eq_u32 s[10:11], v100, s10                 // is thread in edge glvw region
v_and_b32 v96, 63, v[vgprSerial]                   // permute register between threads
v_lshlrev_b32 v96, 2, v96                          // permute register between threads
v_mov_b32 v101, v39                                // glvw 5 mb 9 tt1 0 r 0
v_mov_b32 v102, v36                                // glvw 5 mb 9 tt1 0 r 0
	;; [unrolled: 1-line block ×4, first 2 shown]
ds_bpermute_b32 v102, v96, v102, offset:128        // permute edge values
ds_bpermute_b32 v103, v96, v103, offset:128        // permute edge values
ds_bpermute_b32 v104, v96, v104, offset:128        // permute edge values
s_waitcnt 0                                        // wait for swizzle operation
v_mov_b32 v36, v101                                // 
v_mov_b32 v37, v102                                // 
	;; [unrolled: 1-line block ×4, first 2 shown]
v_mov_b32 v101, v87                                // glvw 5 mb 9 tt1 1 r 0
v_mov_b32 v102, v84                                // glvw 5 mb 9 tt1 1 r 0
	;; [unrolled: 1-line block ×4, first 2 shown]
ds_bpermute_b32 v102, v96, v102, offset:128        // permute edge values
ds_bpermute_b32 v103, v96, v103, offset:128        // permute edge values
	;; [unrolled: 1-line block ×3, first 2 shown]
s_waitcnt 0                                        // wait for swizzle operation
v_mov_b32 v84, v101                                // 
v_mov_b32 v85, v102                                // 
	;; [unrolled: 1-line block ×4, first 2 shown]
s_mov_b64 s[10:11], 0xFFFFFFFFFFFFFFFF             // to restore all threads active
s_or_saveexec_b64 vcc, s[10:11]                    // all threads active
s_branch label_0195                                // done shifting


/******************************************/
/* shift d0 r=5 mb=10 vw0                 */
/******************************************/
label_0142: // r5 mb10 vw0 
s_mov_b32 s10, 18                                  // 
_v_cmpx_eq_u32 s[10:11], v100, s10                 // is thread in edge glvw region
v_and_b32 v96, 63, v[vgprSerial]                   // permute register between threads
v_lshlrev_b32 v96, 2, v96                          // permute register between threads
v_mov_b32 v101, v43                                // glvw 5 mb 10 tt1 0 r 0
v_mov_b32 v102, v40                                // glvw 5 mb 10 tt1 0 r 0
	;; [unrolled: 1-line block ×4, first 2 shown]
ds_bpermute_b32 v102, v96, v102, offset:128        // permute edge values
ds_bpermute_b32 v103, v96, v103, offset:128        // permute edge values
	;; [unrolled: 1-line block ×3, first 2 shown]
s_waitcnt 0                                        // wait for swizzle operation
v_mov_b32 v40, v101                                // 
v_mov_b32 v41, v102                                // 
	;; [unrolled: 1-line block ×4, first 2 shown]
v_mov_b32 v101, v91                                // glvw 5 mb 10 tt1 1 r 0
v_mov_b32 v102, v88                                // glvw 5 mb 10 tt1 1 r 0
	;; [unrolled: 1-line block ×4, first 2 shown]
ds_bpermute_b32 v102, v96, v102, offset:128        // permute edge values
ds_bpermute_b32 v103, v96, v103, offset:128        // permute edge values
	;; [unrolled: 1-line block ×3, first 2 shown]
s_waitcnt 0                                        // wait for swizzle operation
v_mov_b32 v88, v101                                // 
v_mov_b32 v89, v102                                // 
v_mov_b32 v90, v103                                // 
v_mov_b32 v91, v104                                // 
s_mov_b64 s[10:11], 0xFFFFFFFFFFFFFFFF             // to restore all threads active
s_or_saveexec_b64 vcc, s[10:11]                    // all threads active
s_branch label_0195                                // done shifting


/******************************************/
/* shift d0 r=5 mb=11 vw0                 */
/******************************************/
label_0144: // r5 mb11 vw0 
s_mov_b32 s10, 19                                  // 
_v_cmpx_eq_u32 s[10:11], v100, s10                 // is thread in edge glvw region
v_and_b32 v96, 63, v[vgprSerial]                   // permute register between threads
v_lshlrev_b32 v96, 2, v96                          // permute register between threads
v_mov_b32 v101, v47                                // glvw 5 mb 11 tt1 0 r 0
v_mov_b32 v102, v44                                // glvw 5 mb 11 tt1 0 r 0
v_mov_b32 v103, v45                                // glvw 5 mb 11 tt1 0 r 0
v_mov_b32 v104, v46                                // glvw 5 mb 11 tt1 0 r 0
ds_bpermute_b32 v102, v96, v102, offset:128        // permute edge values
ds_bpermute_b32 v103, v96, v103, offset:128        // permute edge values
	;; [unrolled: 1-line block ×3, first 2 shown]
s_waitcnt 0                                        // wait for swizzle operation
v_mov_b32 v44, v101                                // 
v_mov_b32 v45, v102                                // 
	;; [unrolled: 1-line block ×4, first 2 shown]
v_mov_b32 v101, v95                                // glvw 5 mb 11 tt1 1 r 0
v_mov_b32 v102, v92                                // glvw 5 mb 11 tt1 1 r 0
	;; [unrolled: 1-line block ×4, first 2 shown]
ds_bpermute_b32 v102, v96, v102, offset:128        // permute edge values
ds_bpermute_b32 v103, v96, v103, offset:128        // permute edge values
	;; [unrolled: 1-line block ×3, first 2 shown]
s_waitcnt 0                                        // wait for swizzle operation
v_mov_b32 v92, v101                                // 
v_mov_b32 v93, v102                                // 
	;; [unrolled: 1-line block ×4, first 2 shown]
s_mov_b64 s[10:11], 0xFFFFFFFFFFFFFFFF             // to restore all threads active
s_or_saveexec_b64 vcc, s[10:11]                    // all threads active
s_branch label_0195                                // done shifting


/******************************************/
/* shift d0 r=6 mb=0 vw0                  */
/******************************************/
label_0147: // r6 mb0 vw0 
s_mov_b32 s10, 0                                   // 
_v_cmpx_eq_u32 s[10:11], v100, s10                 // is thread in edge glvw region
v_and_b32 v96, 63, v[vgprSerial]                   // permute register between threads
v_lshlrev_b32 v96, 2, v96                          // permute register between threads
v_mov_b32 v101, v2                                 // glvw 6 mb 0 tt1 0 r 0
v_mov_b32 v102, v3                                 // glvw 6 mb 0 tt1 0 r 0
	;; [unrolled: 1-line block ×4, first 2 shown]
ds_bpermute_b32 v103, v96, v103, offset:128        // permute edge values
ds_bpermute_b32 v104, v96, v104, offset:128        // permute edge values
s_waitcnt 0                                        // wait for swizzle operation
v_mov_b32 v0, v101                                 // 
v_mov_b32 v1, v102                                 // 
	;; [unrolled: 1-line block ×4, first 2 shown]
v_mov_b32 v101, v50                                // glvw 6 mb 0 tt1 1 r 0
v_mov_b32 v102, v51                                // glvw 6 mb 0 tt1 1 r 0
	;; [unrolled: 1-line block ×4, first 2 shown]
ds_bpermute_b32 v103, v96, v103, offset:128        // permute edge values
ds_bpermute_b32 v104, v96, v104, offset:128        // permute edge values
s_waitcnt 0                                        // wait for swizzle operation
v_mov_b32 v48, v101                                // 
v_mov_b32 v49, v102                                // 
	;; [unrolled: 1-line block ×4, first 2 shown]
s_mov_b64 s[10:11], 0xFFFFFFFFFFFFFFFF             // to restore all threads active
s_or_saveexec_b64 vcc, s[10:11]                    // all threads active
s_branch label_0195                                // done shifting


/******************************************/
/* shift d0 r=6 mb=1 vw0                  */
/******************************************/
label_0149: // r6 mb1 vw0 
s_mov_b32 s10, 1                                   // 
_v_cmpx_eq_u32 s[10:11], v100, s10                 // is thread in edge glvw region
v_and_b32 v96, 63, v[vgprSerial]                   // permute register between threads
v_lshlrev_b32 v96, 2, v96                          // permute register between threads
v_mov_b32 v101, v6                                 // glvw 6 mb 1 tt1 0 r 0
v_mov_b32 v102, v7                                 // glvw 6 mb 1 tt1 0 r 0
	;; [unrolled: 1-line block ×4, first 2 shown]
ds_bpermute_b32 v103, v96, v103, offset:128        // permute edge values
ds_bpermute_b32 v104, v96, v104, offset:128        // permute edge values
s_waitcnt 0                                        // wait for swizzle operation
v_mov_b32 v4, v101                                 // 
v_mov_b32 v5, v102                                 // 
	;; [unrolled: 1-line block ×4, first 2 shown]
v_mov_b32 v101, v54                                // glvw 6 mb 1 tt1 1 r 0
v_mov_b32 v102, v55                                // glvw 6 mb 1 tt1 1 r 0
	;; [unrolled: 1-line block ×4, first 2 shown]
ds_bpermute_b32 v103, v96, v103, offset:128        // permute edge values
ds_bpermute_b32 v104, v96, v104, offset:128        // permute edge values
s_waitcnt 0                                        // wait for swizzle operation
v_mov_b32 v52, v101                                // 
v_mov_b32 v53, v102                                // 
	;; [unrolled: 1-line block ×4, first 2 shown]
s_mov_b64 s[10:11], 0xFFFFFFFFFFFFFFFF             // to restore all threads active
s_or_saveexec_b64 vcc, s[10:11]                    // all threads active
s_branch label_0195                                // done shifting


/******************************************/
/* shift d0 r=6 mb=2 vw0                  */
/******************************************/
label_0151: // r6 mb2 vw0 
s_mov_b32 s10, 2                                   // 
_v_cmpx_eq_u32 s[10:11], v100, s10                 // is thread in edge glvw region
v_and_b32 v96, 63, v[vgprSerial]                   // permute register between threads
v_lshlrev_b32 v96, 2, v96                          // permute register between threads
v_mov_b32 v101, v10                                // glvw 6 mb 2 tt1 0 r 0
v_mov_b32 v102, v11                                // glvw 6 mb 2 tt1 0 r 0
v_mov_b32 v103, v8                                 // glvw 6 mb 2 tt1 0 r 0
v_mov_b32 v104, v9                                 // glvw 6 mb 2 tt1 0 r 0
ds_bpermute_b32 v103, v96, v103, offset:128        // permute edge values
ds_bpermute_b32 v104, v96, v104, offset:128        // permute edge values
s_waitcnt 0                                        // wait for swizzle operation
v_mov_b32 v8, v101                                 // 
v_mov_b32 v9, v102                                 // 
v_mov_b32 v10, v103                                // 
v_mov_b32 v11, v104                                // 
v_mov_b32 v101, v58                                // glvw 6 mb 2 tt1 1 r 0
v_mov_b32 v102, v59                                // glvw 6 mb 2 tt1 1 r 0
	;; [unrolled: 1-line block ×4, first 2 shown]
ds_bpermute_b32 v103, v96, v103, offset:128        // permute edge values
ds_bpermute_b32 v104, v96, v104, offset:128        // permute edge values
s_waitcnt 0                                        // wait for swizzle operation
v_mov_b32 v56, v101                                // 
v_mov_b32 v57, v102                                // 
	;; [unrolled: 1-line block ×4, first 2 shown]
s_mov_b64 s[10:11], 0xFFFFFFFFFFFFFFFF             // to restore all threads active
s_or_saveexec_b64 vcc, s[10:11]                    // all threads active
s_branch label_0195                                // done shifting


/******************************************/
/* shift d0 r=6 mb=3 vw0                  */
/******************************************/
label_0153: // r6 mb3 vw0 
s_mov_b32 s10, 3                                   // 
_v_cmpx_eq_u32 s[10:11], v100, s10                 // is thread in edge glvw region
v_and_b32 v96, 63, v[vgprSerial]                   // permute register between threads
v_lshlrev_b32 v96, 2, v96                          // permute register between threads
v_mov_b32 v101, v14                                // glvw 6 mb 3 tt1 0 r 0
v_mov_b32 v102, v15                                // glvw 6 mb 3 tt1 0 r 0
	;; [unrolled: 1-line block ×4, first 2 shown]
ds_bpermute_b32 v103, v96, v103, offset:128        // permute edge values
ds_bpermute_b32 v104, v96, v104, offset:128        // permute edge values
s_waitcnt 0                                        // wait for swizzle operation
v_mov_b32 v12, v101                                // 
v_mov_b32 v13, v102                                // 
	;; [unrolled: 1-line block ×4, first 2 shown]
v_mov_b32 v101, v62                                // glvw 6 mb 3 tt1 1 r 0
v_mov_b32 v102, v63                                // glvw 6 mb 3 tt1 1 r 0
	;; [unrolled: 1-line block ×4, first 2 shown]
ds_bpermute_b32 v103, v96, v103, offset:128        // permute edge values
ds_bpermute_b32 v104, v96, v104, offset:128        // permute edge values
s_waitcnt 0                                        // wait for swizzle operation
v_mov_b32 v60, v101                                // 
v_mov_b32 v61, v102                                // 
	;; [unrolled: 1-line block ×4, first 2 shown]
s_mov_b64 s[10:11], 0xFFFFFFFFFFFFFFFF             // to restore all threads active
s_or_saveexec_b64 vcc, s[10:11]                    // all threads active
s_branch label_0195                                // done shifting


/******************************************/
/* shift d0 r=6 mb=4 vw0                  */
/******************************************/
label_0155: // r6 mb4 vw0 
s_mov_b32 s10, 8                                   // 
_v_cmpx_eq_u32 s[10:11], v100, s10                 // is thread in edge glvw region
v_and_b32 v96, 63, v[vgprSerial]                   // permute register between threads
v_lshlrev_b32 v96, 2, v96                          // permute register between threads
v_mov_b32 v101, v18                                // glvw 6 mb 4 tt1 0 r 0
v_mov_b32 v102, v19                                // glvw 6 mb 4 tt1 0 r 0
	;; [unrolled: 1-line block ×4, first 2 shown]
ds_bpermute_b32 v103, v96, v103, offset:128        // permute edge values
ds_bpermute_b32 v104, v96, v104, offset:128        // permute edge values
s_waitcnt 0                                        // wait for swizzle operation
v_mov_b32 v16, v101                                // 
v_mov_b32 v17, v102                                // 
v_mov_b32 v18, v103                                // 
v_mov_b32 v19, v104                                // 
v_mov_b32 v101, v66                                // glvw 6 mb 4 tt1 1 r 0
v_mov_b32 v102, v67                                // glvw 6 mb 4 tt1 1 r 0
	;; [unrolled: 1-line block ×4, first 2 shown]
ds_bpermute_b32 v103, v96, v103, offset:128        // permute edge values
ds_bpermute_b32 v104, v96, v104, offset:128        // permute edge values
s_waitcnt 0                                        // wait for swizzle operation
v_mov_b32 v64, v101                                // 
v_mov_b32 v65, v102                                // 
	;; [unrolled: 1-line block ×4, first 2 shown]
s_mov_b64 s[10:11], 0xFFFFFFFFFFFFFFFF             // to restore all threads active
s_or_saveexec_b64 vcc, s[10:11]                    // all threads active
s_branch label_0195                                // done shifting


/******************************************/
/* shift d0 r=6 mb=5 vw0                  */
/******************************************/
label_0157: // r6 mb5 vw0 
s_mov_b32 s10, 9                                   // 
_v_cmpx_eq_u32 s[10:11], v100, s10                 // is thread in edge glvw region
v_and_b32 v96, 63, v[vgprSerial]                   // permute register between threads
v_lshlrev_b32 v96, 2, v96                          // permute register between threads
v_mov_b32 v101, v22                                // glvw 6 mb 5 tt1 0 r 0
v_mov_b32 v102, v23                                // glvw 6 mb 5 tt1 0 r 0
	;; [unrolled: 1-line block ×4, first 2 shown]
ds_bpermute_b32 v103, v96, v103, offset:128        // permute edge values
ds_bpermute_b32 v104, v96, v104, offset:128        // permute edge values
s_waitcnt 0                                        // wait for swizzle operation
v_mov_b32 v20, v101                                // 
v_mov_b32 v21, v102                                // 
v_mov_b32 v22, v103                                // 
v_mov_b32 v23, v104                                // 
v_mov_b32 v101, v70                                // glvw 6 mb 5 tt1 1 r 0
v_mov_b32 v102, v71                                // glvw 6 mb 5 tt1 1 r 0
	;; [unrolled: 1-line block ×4, first 2 shown]
ds_bpermute_b32 v103, v96, v103, offset:128        // permute edge values
ds_bpermute_b32 v104, v96, v104, offset:128        // permute edge values
s_waitcnt 0                                        // wait for swizzle operation
v_mov_b32 v68, v101                                // 
v_mov_b32 v69, v102                                // 
	;; [unrolled: 1-line block ×4, first 2 shown]
s_mov_b64 s[10:11], 0xFFFFFFFFFFFFFFFF             // to restore all threads active
s_or_saveexec_b64 vcc, s[10:11]                    // all threads active
s_branch label_0195                                // done shifting


/******************************************/
/* shift d0 r=6 mb=6 vw0                  */
/******************************************/
label_0159: // r6 mb6 vw0 
s_mov_b32 s10, 10                                  // 
_v_cmpx_eq_u32 s[10:11], v100, s10                 // is thread in edge glvw region
v_and_b32 v96, 63, v[vgprSerial]                   // permute register between threads
v_lshlrev_b32 v96, 2, v96                          // permute register between threads
v_mov_b32 v101, v26                                // glvw 6 mb 6 tt1 0 r 0
v_mov_b32 v102, v27                                // glvw 6 mb 6 tt1 0 r 0
	;; [unrolled: 1-line block ×4, first 2 shown]
ds_bpermute_b32 v103, v96, v103, offset:128        // permute edge values
ds_bpermute_b32 v104, v96, v104, offset:128        // permute edge values
s_waitcnt 0                                        // wait for swizzle operation
v_mov_b32 v24, v101                                // 
v_mov_b32 v25, v102                                // 
	;; [unrolled: 1-line block ×4, first 2 shown]
v_mov_b32 v101, v74                                // glvw 6 mb 6 tt1 1 r 0
v_mov_b32 v102, v75                                // glvw 6 mb 6 tt1 1 r 0
	;; [unrolled: 1-line block ×4, first 2 shown]
ds_bpermute_b32 v103, v96, v103, offset:128        // permute edge values
ds_bpermute_b32 v104, v96, v104, offset:128        // permute edge values
s_waitcnt 0                                        // wait for swizzle operation
v_mov_b32 v72, v101                                // 
v_mov_b32 v73, v102                                // 
	;; [unrolled: 1-line block ×4, first 2 shown]
s_mov_b64 s[10:11], 0xFFFFFFFFFFFFFFFF             // to restore all threads active
s_or_saveexec_b64 vcc, s[10:11]                    // all threads active
s_branch label_0195                                // done shifting


/******************************************/
/* shift d0 r=6 mb=7 vw0                  */
/******************************************/
label_0161: // r6 mb7 vw0 
s_mov_b32 s10, 11                                  // 
_v_cmpx_eq_u32 s[10:11], v100, s10                 // is thread in edge glvw region
v_and_b32 v96, 63, v[vgprSerial]                   // permute register between threads
v_lshlrev_b32 v96, 2, v96                          // permute register between threads
v_mov_b32 v101, v30                                // glvw 6 mb 7 tt1 0 r 0
v_mov_b32 v102, v31                                // glvw 6 mb 7 tt1 0 r 0
	;; [unrolled: 1-line block ×4, first 2 shown]
ds_bpermute_b32 v103, v96, v103, offset:128        // permute edge values
ds_bpermute_b32 v104, v96, v104, offset:128        // permute edge values
s_waitcnt 0                                        // wait for swizzle operation
v_mov_b32 v28, v101                                // 
v_mov_b32 v29, v102                                // 
	;; [unrolled: 1-line block ×4, first 2 shown]
v_mov_b32 v101, v78                                // glvw 6 mb 7 tt1 1 r 0
v_mov_b32 v102, v79                                // glvw 6 mb 7 tt1 1 r 0
	;; [unrolled: 1-line block ×4, first 2 shown]
ds_bpermute_b32 v103, v96, v103, offset:128        // permute edge values
ds_bpermute_b32 v104, v96, v104, offset:128        // permute edge values
s_waitcnt 0                                        // wait for swizzle operation
v_mov_b32 v76, v101                                // 
v_mov_b32 v77, v102                                // 
	;; [unrolled: 1-line block ×4, first 2 shown]
s_mov_b64 s[10:11], 0xFFFFFFFFFFFFFFFF             // to restore all threads active
s_or_saveexec_b64 vcc, s[10:11]                    // all threads active
s_branch label_0195                                // done shifting


/******************************************/
/* shift d0 r=6 mb=8 vw0                  */
/******************************************/
label_0163: // r6 mb8 vw0 
s_mov_b32 s10, 16                                  // 
_v_cmpx_eq_u32 s[10:11], v100, s10                 // is thread in edge glvw region
v_and_b32 v96, 63, v[vgprSerial]                   // permute register between threads
v_lshlrev_b32 v96, 2, v96                          // permute register between threads
v_mov_b32 v101, v34                                // glvw 6 mb 8 tt1 0 r 0
v_mov_b32 v102, v35                                // glvw 6 mb 8 tt1 0 r 0
	;; [unrolled: 1-line block ×4, first 2 shown]
ds_bpermute_b32 v103, v96, v103, offset:128        // permute edge values
ds_bpermute_b32 v104, v96, v104, offset:128        // permute edge values
s_waitcnt 0                                        // wait for swizzle operation
v_mov_b32 v32, v101                                // 
v_mov_b32 v33, v102                                // 
	;; [unrolled: 1-line block ×4, first 2 shown]
v_mov_b32 v101, v82                                // glvw 6 mb 8 tt1 1 r 0
v_mov_b32 v102, v83                                // glvw 6 mb 8 tt1 1 r 0
	;; [unrolled: 1-line block ×4, first 2 shown]
ds_bpermute_b32 v103, v96, v103, offset:128        // permute edge values
ds_bpermute_b32 v104, v96, v104, offset:128        // permute edge values
s_waitcnt 0                                        // wait for swizzle operation
v_mov_b32 v80, v101                                // 
v_mov_b32 v81, v102                                // 
	;; [unrolled: 1-line block ×4, first 2 shown]
s_mov_b64 s[10:11], 0xFFFFFFFFFFFFFFFF             // to restore all threads active
s_or_saveexec_b64 vcc, s[10:11]                    // all threads active
s_branch label_0195                                // done shifting


/******************************************/
/* shift d0 r=6 mb=9 vw0                  */
/******************************************/
label_0165: // r6 mb9 vw0 
s_mov_b32 s10, 17                                  // 
_v_cmpx_eq_u32 s[10:11], v100, s10                 // is thread in edge glvw region
v_and_b32 v96, 63, v[vgprSerial]                   // permute register between threads
v_lshlrev_b32 v96, 2, v96                          // permute register between threads
v_mov_b32 v101, v38                                // glvw 6 mb 9 tt1 0 r 0
v_mov_b32 v102, v39                                // glvw 6 mb 9 tt1 0 r 0
	;; [unrolled: 1-line block ×4, first 2 shown]
ds_bpermute_b32 v103, v96, v103, offset:128        // permute edge values
ds_bpermute_b32 v104, v96, v104, offset:128        // permute edge values
s_waitcnt 0                                        // wait for swizzle operation
v_mov_b32 v36, v101                                // 
v_mov_b32 v37, v102                                // 
	;; [unrolled: 1-line block ×4, first 2 shown]
v_mov_b32 v101, v86                                // glvw 6 mb 9 tt1 1 r 0
v_mov_b32 v102, v87                                // glvw 6 mb 9 tt1 1 r 0
	;; [unrolled: 1-line block ×4, first 2 shown]
ds_bpermute_b32 v103, v96, v103, offset:128        // permute edge values
ds_bpermute_b32 v104, v96, v104, offset:128        // permute edge values
s_waitcnt 0                                        // wait for swizzle operation
v_mov_b32 v84, v101                                // 
v_mov_b32 v85, v102                                // 
	;; [unrolled: 1-line block ×4, first 2 shown]
s_mov_b64 s[10:11], 0xFFFFFFFFFFFFFFFF             // to restore all threads active
s_or_saveexec_b64 vcc, s[10:11]                    // all threads active
s_branch label_0195                                // done shifting


/******************************************/
/* shift d0 r=6 mb=10 vw0                 */
/******************************************/
label_0167: // r6 mb10 vw0 
s_mov_b32 s10, 18                                  // 
_v_cmpx_eq_u32 s[10:11], v100, s10                 // is thread in edge glvw region
v_and_b32 v96, 63, v[vgprSerial]                   // permute register between threads
v_lshlrev_b32 v96, 2, v96                          // permute register between threads
v_mov_b32 v101, v42                                // glvw 6 mb 10 tt1 0 r 0
v_mov_b32 v102, v43                                // glvw 6 mb 10 tt1 0 r 0
	;; [unrolled: 1-line block ×4, first 2 shown]
ds_bpermute_b32 v103, v96, v103, offset:128        // permute edge values
ds_bpermute_b32 v104, v96, v104, offset:128        // permute edge values
s_waitcnt 0                                        // wait for swizzle operation
v_mov_b32 v40, v101                                // 
v_mov_b32 v41, v102                                // 
	;; [unrolled: 1-line block ×4, first 2 shown]
v_mov_b32 v101, v90                                // glvw 6 mb 10 tt1 1 r 0
v_mov_b32 v102, v91                                // glvw 6 mb 10 tt1 1 r 0
	;; [unrolled: 1-line block ×4, first 2 shown]
ds_bpermute_b32 v103, v96, v103, offset:128        // permute edge values
ds_bpermute_b32 v104, v96, v104, offset:128        // permute edge values
s_waitcnt 0                                        // wait for swizzle operation
v_mov_b32 v88, v101                                // 
v_mov_b32 v89, v102                                // 
v_mov_b32 v90, v103                                // 
v_mov_b32 v91, v104                                // 
s_mov_b64 s[10:11], 0xFFFFFFFFFFFFFFFF             // to restore all threads active
s_or_saveexec_b64 vcc, s[10:11]                    // all threads active
s_branch label_0195                                // done shifting


/******************************************/
/* shift d0 r=6 mb=11 vw0                 */
/******************************************/
label_0169: // r6 mb11 vw0 
s_mov_b32 s10, 19                                  // 
_v_cmpx_eq_u32 s[10:11], v100, s10                 // is thread in edge glvw region
v_and_b32 v96, 63, v[vgprSerial]                   // permute register between threads
v_lshlrev_b32 v96, 2, v96                          // permute register between threads
v_mov_b32 v101, v46                                // glvw 6 mb 11 tt1 0 r 0
v_mov_b32 v102, v47                                // glvw 6 mb 11 tt1 0 r 0
	;; [unrolled: 1-line block ×4, first 2 shown]
ds_bpermute_b32 v103, v96, v103, offset:128        // permute edge values
ds_bpermute_b32 v104, v96, v104, offset:128        // permute edge values
s_waitcnt 0                                        // wait for swizzle operation
v_mov_b32 v44, v101                                // 
v_mov_b32 v45, v102                                // 
	;; [unrolled: 1-line block ×4, first 2 shown]
v_mov_b32 v101, v94                                // glvw 6 mb 11 tt1 1 r 0
v_mov_b32 v102, v95                                // glvw 6 mb 11 tt1 1 r 0
	;; [unrolled: 1-line block ×4, first 2 shown]
ds_bpermute_b32 v103, v96, v103, offset:128        // permute edge values
ds_bpermute_b32 v104, v96, v104, offset:128        // permute edge values
s_waitcnt 0                                        // wait for swizzle operation
v_mov_b32 v92, v101                                // 
v_mov_b32 v93, v102                                // 
	;; [unrolled: 1-line block ×4, first 2 shown]
s_mov_b64 s[10:11], 0xFFFFFFFFFFFFFFFF             // to restore all threads active
s_or_saveexec_b64 vcc, s[10:11]                    // all threads active
s_branch label_0195                                // done shifting


/******************************************/
/* shift d0 r=7 mb=0 vw0                  */
/******************************************/
label_0172: // r7 mb0 vw0 
s_mov_b32 s10, 0                                   // 
_v_cmpx_eq_u32 s[10:11], v100, s10                 // is thread in edge glvw region
v_and_b32 v96, 63, v[vgprSerial]                   // permute register between threads
v_lshlrev_b32 v96, 2, v96                          // permute register between threads
v_mov_b32 v101, v1                                 // glvw 7 mb 0 tt1 0 r 0
v_mov_b32 v102, v2                                 // glvw 7 mb 0 tt1 0 r 0
	;; [unrolled: 1-line block ×4, first 2 shown]
ds_bpermute_b32 v104, v96, v104, offset:128        // permute edge values
s_waitcnt 0                                        // wait for swizzle operation
v_mov_b32 v0, v101                                 // 
v_mov_b32 v1, v102                                 // 
	;; [unrolled: 1-line block ×4, first 2 shown]
v_mov_b32 v101, v49                                // glvw 7 mb 0 tt1 1 r 0
v_mov_b32 v102, v50                                // glvw 7 mb 0 tt1 1 r 0
	;; [unrolled: 1-line block ×4, first 2 shown]
ds_bpermute_b32 v104, v96, v104, offset:128        // permute edge values
s_waitcnt 0                                        // wait for swizzle operation
v_mov_b32 v48, v101                                // 
v_mov_b32 v49, v102                                // 
	;; [unrolled: 1-line block ×4, first 2 shown]
s_mov_b64 s[10:11], 0xFFFFFFFFFFFFFFFF             // to restore all threads active
s_or_saveexec_b64 vcc, s[10:11]                    // all threads active
s_branch label_0195                                // done shifting


/******************************************/
/* shift d0 r=7 mb=1 vw0                  */
/******************************************/
label_0174: // r7 mb1 vw0 
s_mov_b32 s10, 1                                   // 
_v_cmpx_eq_u32 s[10:11], v100, s10                 // is thread in edge glvw region
v_and_b32 v96, 63, v[vgprSerial]                   // permute register between threads
v_lshlrev_b32 v96, 2, v96                          // permute register between threads
v_mov_b32 v101, v5                                 // glvw 7 mb 1 tt1 0 r 0
v_mov_b32 v102, v6                                 // glvw 7 mb 1 tt1 0 r 0
v_mov_b32 v103, v7                                 // glvw 7 mb 1 tt1 0 r 0
v_mov_b32 v104, v4                                 // glvw 7 mb 1 tt1 0 r 0
ds_bpermute_b32 v104, v96, v104, offset:128        // permute edge values
s_waitcnt 0                                        // wait for swizzle operation
v_mov_b32 v4, v101                                 // 
v_mov_b32 v5, v102                                 // 
	;; [unrolled: 1-line block ×4, first 2 shown]
v_mov_b32 v101, v53                                // glvw 7 mb 1 tt1 1 r 0
v_mov_b32 v102, v54                                // glvw 7 mb 1 tt1 1 r 0
	;; [unrolled: 1-line block ×4, first 2 shown]
ds_bpermute_b32 v104, v96, v104, offset:128        // permute edge values
s_waitcnt 0                                        // wait for swizzle operation
v_mov_b32 v52, v101                                // 
v_mov_b32 v53, v102                                // 
	;; [unrolled: 1-line block ×4, first 2 shown]
s_mov_b64 s[10:11], 0xFFFFFFFFFFFFFFFF             // to restore all threads active
s_or_saveexec_b64 vcc, s[10:11]                    // all threads active
s_branch label_0195                                // done shifting


/******************************************/
/* shift d0 r=7 mb=2 vw0                  */
/******************************************/
label_0176: // r7 mb2 vw0 
s_mov_b32 s10, 2                                   // 
_v_cmpx_eq_u32 s[10:11], v100, s10                 // is thread in edge glvw region
v_and_b32 v96, 63, v[vgprSerial]                   // permute register between threads
v_lshlrev_b32 v96, 2, v96                          // permute register between threads
v_mov_b32 v101, v9                                 // glvw 7 mb 2 tt1 0 r 0
v_mov_b32 v102, v10                                // glvw 7 mb 2 tt1 0 r 0
v_mov_b32 v103, v11                                // glvw 7 mb 2 tt1 0 r 0
v_mov_b32 v104, v8                                 // glvw 7 mb 2 tt1 0 r 0
ds_bpermute_b32 v104, v96, v104, offset:128        // permute edge values
s_waitcnt 0                                        // wait for swizzle operation
v_mov_b32 v8, v101                                 // 
v_mov_b32 v9, v102                                 // 
v_mov_b32 v10, v103                                // 
v_mov_b32 v11, v104                                // 
v_mov_b32 v101, v57                                // glvw 7 mb 2 tt1 1 r 0
v_mov_b32 v102, v58                                // glvw 7 mb 2 tt1 1 r 0
	;; [unrolled: 1-line block ×4, first 2 shown]
ds_bpermute_b32 v104, v96, v104, offset:128        // permute edge values
s_waitcnt 0                                        // wait for swizzle operation
v_mov_b32 v56, v101                                // 
v_mov_b32 v57, v102                                // 
	;; [unrolled: 1-line block ×4, first 2 shown]
s_mov_b64 s[10:11], 0xFFFFFFFFFFFFFFFF             // to restore all threads active
s_or_saveexec_b64 vcc, s[10:11]                    // all threads active
s_branch label_0195                                // done shifting


/******************************************/
/* shift d0 r=7 mb=3 vw0                  */
/******************************************/
label_0178: // r7 mb3 vw0 
s_mov_b32 s10, 3                                   // 
_v_cmpx_eq_u32 s[10:11], v100, s10                 // is thread in edge glvw region
v_and_b32 v96, 63, v[vgprSerial]                   // permute register between threads
v_lshlrev_b32 v96, 2, v96                          // permute register between threads
v_mov_b32 v101, v13                                // glvw 7 mb 3 tt1 0 r 0
v_mov_b32 v102, v14                                // glvw 7 mb 3 tt1 0 r 0
	;; [unrolled: 1-line block ×4, first 2 shown]
ds_bpermute_b32 v104, v96, v104, offset:128        // permute edge values
s_waitcnt 0                                        // wait for swizzle operation
v_mov_b32 v12, v101                                // 
v_mov_b32 v13, v102                                // 
v_mov_b32 v14, v103                                // 
v_mov_b32 v15, v104                                // 
v_mov_b32 v101, v61                                // glvw 7 mb 3 tt1 1 r 0
v_mov_b32 v102, v62                                // glvw 7 mb 3 tt1 1 r 0
	;; [unrolled: 1-line block ×4, first 2 shown]
ds_bpermute_b32 v104, v96, v104, offset:128        // permute edge values
s_waitcnt 0                                        // wait for swizzle operation
v_mov_b32 v60, v101                                // 
v_mov_b32 v61, v102                                // 
	;; [unrolled: 1-line block ×4, first 2 shown]
s_mov_b64 s[10:11], 0xFFFFFFFFFFFFFFFF             // to restore all threads active
s_or_saveexec_b64 vcc, s[10:11]                    // all threads active
s_branch label_0195                                // done shifting


/******************************************/
/* shift d0 r=7 mb=4 vw0                  */
/******************************************/
label_0180: // r7 mb4 vw0 
s_mov_b32 s10, 8                                   // 
_v_cmpx_eq_u32 s[10:11], v100, s10                 // is thread in edge glvw region
v_and_b32 v96, 63, v[vgprSerial]                   // permute register between threads
v_lshlrev_b32 v96, 2, v96                          // permute register between threads
v_mov_b32 v101, v17                                // glvw 7 mb 4 tt1 0 r 0
v_mov_b32 v102, v18                                // glvw 7 mb 4 tt1 0 r 0
	;; [unrolled: 1-line block ×4, first 2 shown]
ds_bpermute_b32 v104, v96, v104, offset:128        // permute edge values
s_waitcnt 0                                        // wait for swizzle operation
v_mov_b32 v16, v101                                // 
v_mov_b32 v17, v102                                // 
	;; [unrolled: 1-line block ×4, first 2 shown]
v_mov_b32 v101, v65                                // glvw 7 mb 4 tt1 1 r 0
v_mov_b32 v102, v66                                // glvw 7 mb 4 tt1 1 r 0
	;; [unrolled: 1-line block ×4, first 2 shown]
ds_bpermute_b32 v104, v96, v104, offset:128        // permute edge values
s_waitcnt 0                                        // wait for swizzle operation
v_mov_b32 v64, v101                                // 
v_mov_b32 v65, v102                                // 
	;; [unrolled: 1-line block ×4, first 2 shown]
s_mov_b64 s[10:11], 0xFFFFFFFFFFFFFFFF             // to restore all threads active
s_or_saveexec_b64 vcc, s[10:11]                    // all threads active
s_branch label_0195                                // done shifting


/******************************************/
/* shift d0 r=7 mb=5 vw0                  */
/******************************************/
label_0182: // r7 mb5 vw0 
s_mov_b32 s10, 9                                   // 
_v_cmpx_eq_u32 s[10:11], v100, s10                 // is thread in edge glvw region
v_and_b32 v96, 63, v[vgprSerial]                   // permute register between threads
v_lshlrev_b32 v96, 2, v96                          // permute register between threads
v_mov_b32 v101, v21                                // glvw 7 mb 5 tt1 0 r 0
v_mov_b32 v102, v22                                // glvw 7 mb 5 tt1 0 r 0
	;; [unrolled: 1-line block ×4, first 2 shown]
ds_bpermute_b32 v104, v96, v104, offset:128        // permute edge values
s_waitcnt 0                                        // wait for swizzle operation
v_mov_b32 v20, v101                                // 
v_mov_b32 v21, v102                                // 
	;; [unrolled: 1-line block ×4, first 2 shown]
v_mov_b32 v101, v69                                // glvw 7 mb 5 tt1 1 r 0
v_mov_b32 v102, v70                                // glvw 7 mb 5 tt1 1 r 0
	;; [unrolled: 1-line block ×4, first 2 shown]
ds_bpermute_b32 v104, v96, v104, offset:128        // permute edge values
s_waitcnt 0                                        // wait for swizzle operation
v_mov_b32 v68, v101                                // 
v_mov_b32 v69, v102                                // 
	;; [unrolled: 1-line block ×4, first 2 shown]
s_mov_b64 s[10:11], 0xFFFFFFFFFFFFFFFF             // to restore all threads active
s_or_saveexec_b64 vcc, s[10:11]                    // all threads active
s_branch label_0195                                // done shifting


/******************************************/
/* shift d0 r=7 mb=6 vw0                  */
/******************************************/
label_0184: // r7 mb6 vw0 
s_mov_b32 s10, 10                                  // 
_v_cmpx_eq_u32 s[10:11], v100, s10                 // is thread in edge glvw region
v_and_b32 v96, 63, v[vgprSerial]                   // permute register between threads
v_lshlrev_b32 v96, 2, v96                          // permute register between threads
v_mov_b32 v101, v25                                // glvw 7 mb 6 tt1 0 r 0
v_mov_b32 v102, v26                                // glvw 7 mb 6 tt1 0 r 0
	;; [unrolled: 1-line block ×4, first 2 shown]
ds_bpermute_b32 v104, v96, v104, offset:128        // permute edge values
s_waitcnt 0                                        // wait for swizzle operation
v_mov_b32 v24, v101                                // 
v_mov_b32 v25, v102                                // 
	;; [unrolled: 1-line block ×4, first 2 shown]
v_mov_b32 v101, v73                                // glvw 7 mb 6 tt1 1 r 0
v_mov_b32 v102, v74                                // glvw 7 mb 6 tt1 1 r 0
	;; [unrolled: 1-line block ×4, first 2 shown]
ds_bpermute_b32 v104, v96, v104, offset:128        // permute edge values
s_waitcnt 0                                        // wait for swizzle operation
v_mov_b32 v72, v101                                // 
v_mov_b32 v73, v102                                // 
	;; [unrolled: 1-line block ×4, first 2 shown]
s_mov_b64 s[10:11], 0xFFFFFFFFFFFFFFFF             // to restore all threads active
s_or_saveexec_b64 vcc, s[10:11]                    // all threads active
s_branch label_0195                                // done shifting


/******************************************/
/* shift d0 r=7 mb=7 vw0                  */
/******************************************/
label_0186: // r7 mb7 vw0 
s_mov_b32 s10, 11                                  // 
_v_cmpx_eq_u32 s[10:11], v100, s10                 // is thread in edge glvw region
v_and_b32 v96, 63, v[vgprSerial]                   // permute register between threads
v_lshlrev_b32 v96, 2, v96                          // permute register between threads
v_mov_b32 v101, v29                                // glvw 7 mb 7 tt1 0 r 0
v_mov_b32 v102, v30                                // glvw 7 mb 7 tt1 0 r 0
	;; [unrolled: 1-line block ×4, first 2 shown]
ds_bpermute_b32 v104, v96, v104, offset:128        // permute edge values
s_waitcnt 0                                        // wait for swizzle operation
v_mov_b32 v28, v101                                // 
v_mov_b32 v29, v102                                // 
	;; [unrolled: 1-line block ×4, first 2 shown]
v_mov_b32 v101, v77                                // glvw 7 mb 7 tt1 1 r 0
v_mov_b32 v102, v78                                // glvw 7 mb 7 tt1 1 r 0
	;; [unrolled: 1-line block ×4, first 2 shown]
ds_bpermute_b32 v104, v96, v104, offset:128        // permute edge values
s_waitcnt 0                                        // wait for swizzle operation
v_mov_b32 v76, v101                                // 
v_mov_b32 v77, v102                                // 
	;; [unrolled: 1-line block ×4, first 2 shown]
s_mov_b64 s[10:11], 0xFFFFFFFFFFFFFFFF             // to restore all threads active
s_or_saveexec_b64 vcc, s[10:11]                    // all threads active
s_branch label_0195                                // done shifting


/******************************************/
/* shift d0 r=7 mb=8 vw0                  */
/******************************************/
label_0188: // r7 mb8 vw0 
s_mov_b32 s10, 16                                  // 
_v_cmpx_eq_u32 s[10:11], v100, s10                 // is thread in edge glvw region
v_and_b32 v96, 63, v[vgprSerial]                   // permute register between threads
v_lshlrev_b32 v96, 2, v96                          // permute register between threads
v_mov_b32 v101, v33                                // glvw 7 mb 8 tt1 0 r 0
v_mov_b32 v102, v34                                // glvw 7 mb 8 tt1 0 r 0
	;; [unrolled: 1-line block ×4, first 2 shown]
ds_bpermute_b32 v104, v96, v104, offset:128        // permute edge values
s_waitcnt 0                                        // wait for swizzle operation
v_mov_b32 v32, v101                                // 
v_mov_b32 v33, v102                                // 
	;; [unrolled: 1-line block ×4, first 2 shown]
v_mov_b32 v101, v81                                // glvw 7 mb 8 tt1 1 r 0
v_mov_b32 v102, v82                                // glvw 7 mb 8 tt1 1 r 0
	;; [unrolled: 1-line block ×4, first 2 shown]
ds_bpermute_b32 v104, v96, v104, offset:128        // permute edge values
s_waitcnt 0                                        // wait for swizzle operation
v_mov_b32 v80, v101                                // 
v_mov_b32 v81, v102                                // 
	;; [unrolled: 1-line block ×4, first 2 shown]
s_mov_b64 s[10:11], 0xFFFFFFFFFFFFFFFF             // to restore all threads active
s_or_saveexec_b64 vcc, s[10:11]                    // all threads active
s_branch label_0195                                // done shifting


/******************************************/
/* shift d0 r=7 mb=9 vw0                  */
/******************************************/
label_0190: // r7 mb9 vw0 
s_mov_b32 s10, 17                                  // 
_v_cmpx_eq_u32 s[10:11], v100, s10                 // is thread in edge glvw region
v_and_b32 v96, 63, v[vgprSerial]                   // permute register between threads
v_lshlrev_b32 v96, 2, v96                          // permute register between threads
v_mov_b32 v101, v37                                // glvw 7 mb 9 tt1 0 r 0
v_mov_b32 v102, v38                                // glvw 7 mb 9 tt1 0 r 0
	;; [unrolled: 1-line block ×4, first 2 shown]
ds_bpermute_b32 v104, v96, v104, offset:128        // permute edge values
s_waitcnt 0                                        // wait for swizzle operation
v_mov_b32 v36, v101                                // 
v_mov_b32 v37, v102                                // 
	;; [unrolled: 1-line block ×4, first 2 shown]
v_mov_b32 v101, v85                                // glvw 7 mb 9 tt1 1 r 0
v_mov_b32 v102, v86                                // glvw 7 mb 9 tt1 1 r 0
	;; [unrolled: 1-line block ×4, first 2 shown]
ds_bpermute_b32 v104, v96, v104, offset:128        // permute edge values
s_waitcnt 0                                        // wait for swizzle operation
v_mov_b32 v84, v101                                // 
v_mov_b32 v85, v102                                // 
	;; [unrolled: 1-line block ×4, first 2 shown]
s_mov_b64 s[10:11], 0xFFFFFFFFFFFFFFFF             // to restore all threads active
s_or_saveexec_b64 vcc, s[10:11]                    // all threads active
s_branch label_0195                                // done shifting


/******************************************/
/* shift d0 r=7 mb=10 vw0                 */
/******************************************/
label_0192: // r7 mb10 vw0 
s_mov_b32 s10, 18                                  // 
_v_cmpx_eq_u32 s[10:11], v100, s10                 // is thread in edge glvw region
v_and_b32 v96, 63, v[vgprSerial]                   // permute register between threads
v_lshlrev_b32 v96, 2, v96                          // permute register between threads
v_mov_b32 v101, v41                                // glvw 7 mb 10 tt1 0 r 0
v_mov_b32 v102, v42                                // glvw 7 mb 10 tt1 0 r 0
	;; [unrolled: 1-line block ×4, first 2 shown]
ds_bpermute_b32 v104, v96, v104, offset:128        // permute edge values
s_waitcnt 0                                        // wait for swizzle operation
v_mov_b32 v40, v101                                // 
v_mov_b32 v41, v102                                // 
	;; [unrolled: 1-line block ×4, first 2 shown]
v_mov_b32 v101, v89                                // glvw 7 mb 10 tt1 1 r 0
v_mov_b32 v102, v90                                // glvw 7 mb 10 tt1 1 r 0
	;; [unrolled: 1-line block ×4, first 2 shown]
ds_bpermute_b32 v104, v96, v104, offset:128        // permute edge values
s_waitcnt 0                                        // wait for swizzle operation
v_mov_b32 v88, v101                                // 
v_mov_b32 v89, v102                                // 
	;; [unrolled: 1-line block ×4, first 2 shown]
s_mov_b64 s[10:11], 0xFFFFFFFFFFFFFFFF             // to restore all threads active
s_or_saveexec_b64 vcc, s[10:11]                    // all threads active
s_branch label_0195                                // done shifting


/******************************************/
/* shift d0 r=7 mb=11 vw0                 */
/******************************************/
label_0194: // r7 mb11 vw0 
s_mov_b32 s10, 19                                  // 
_v_cmpx_eq_u32 s[10:11], v100, s10                 // is thread in edge glvw region
v_and_b32 v96, 63, v[vgprSerial]                   // permute register between threads
v_lshlrev_b32 v96, 2, v96                          // permute register between threads
v_mov_b32 v101, v45                                // glvw 7 mb 11 tt1 0 r 0
v_mov_b32 v102, v46                                // glvw 7 mb 11 tt1 0 r 0
	;; [unrolled: 1-line block ×4, first 2 shown]
ds_bpermute_b32 v104, v96, v104, offset:128        // permute edge values
s_waitcnt 0                                        // wait for swizzle operation
v_mov_b32 v44, v101                                // 
v_mov_b32 v45, v102                                // 
	;; [unrolled: 1-line block ×4, first 2 shown]
v_mov_b32 v101, v93                                // glvw 7 mb 11 tt1 1 r 0
v_mov_b32 v102, v94                                // glvw 7 mb 11 tt1 1 r 0
	;; [unrolled: 1-line block ×4, first 2 shown]
ds_bpermute_b32 v104, v96, v104, offset:128        // permute edge values
s_waitcnt 0                                        // wait for swizzle operation
v_mov_b32 v92, v101                                // 
v_mov_b32 v93, v102                                // 
	;; [unrolled: 1-line block ×4, first 2 shown]
s_mov_b64 s[10:11], 0xFFFFFFFFFFFFFFFF             // to restore all threads active
s_or_saveexec_b64 vcc, s[10:11]                    // all threads active
s_branch label_0195                                // done shifting

label_0195: // end shift0


/* shift vector components d1 */

v_mov_b32 v97, s[sgprWorkGroup1]                   // 
v_mul_i32_i24 v97, -0x80, v97                      // wg*MT
_v_add_co_u32 v97, vcc, s[sgprSizesFree+1], v97    // wgMT = Size - wg*MT
v_mov_b32 v98, 0x80                                // MT
v_min_u32 v97, v98, v97                            // wgMT = (wgMT < MT) ? wgMT : MT
v_lshrrev_b32 v96, 7, v[vgprSerial]                // v96 = v[vgprSerial] / 128
v_and_b32 v99, 1, v96                              // v99 = v96 % 2
v_lshrrev_b32 v96, 6, v97                          // v96 = v97 / 64
v_and_b32 v100, 1, v96                             // v100 = v96 % 2
v_cmp_eq_u32 s[10:11], v100, v99                   // wave_id == block_belong_to_wave?
v_cndmask_b32 v97, v98, v97, s[10:11]              // wgMT = (wgMT < MT) ? wgMT : MT

/* mbReg: which mb block need to shift, mb(matrixInstCoal(32) * VectorWidth(2)) */
v_lshrrev_b32 v98, 6, v97                          // v98 = v97 / 64
v_lshlrev_b32 v100, 0x0, v99                       // v100 = v99 * 1
_v_sub_u32 v98, v98, v100                          // 

/* gbReg: glvw block id */
v_lshrrev_b32 v100, 3, v97                         // v100 = v97 / 8

/* tgbReg: glvw block id */
v_lshrrev_b32 v96, 0, v[vgprSerial]                // v96 = v[vgprSerial] / 1
v_and_b32 v101, 31, v96                            // v101 = v96 % 32
v_lshlrev_b32 v101, 0x1, v101                      // v101 = v101 * 2
v_lshrrev_b32 v101, 3, v101                        // v101 = v101 / 8
v_lshlrev_b32 v99, 0x3, v99                        // v99 = v99 * 8
_v_add_co_u32 v101, vcc, v99, v101                 // tgbReg = (tid_coal * continOut) / GLVW
_v_sub_u32 v100, v100, v101                        // 

/* vwReg: glvw in which vw block? */
v_and_b32 v99, 1, v97                              // permute register between threads
v_lshrrev_b32 v99, 3, v99                          // permute register between threads

/* rReg : reminder of M_size % GlobalLoadVectorWidth */
v_and_b32 v101, 7, v97                             // v101 = v97 % 8
v_cmp_eq_u32 vcc, v101, 0x1                        // wgMT%VW == 1
s_cbranch_vccnz label_0220                         // branch to shift d1 r=1
v_cmp_eq_u32 vcc, v101, 0x2                        // wgMT%VW == 2
s_cbranch_vccnz label_0223                         // branch to shift d1 r=2
v_cmp_eq_u32 vcc, v101, 0x3                        // wgMT%VW == 3
s_cbranch_vccnz label_0226                         // branch to shift d1 r=3
v_cmp_eq_u32 vcc, v101, 0x4                        // wgMT%VW == 4
s_cbranch_vccnz label_0229                         // branch to shift d1 r=4
v_cmp_eq_u32 vcc, v101, 0x5                        // wgMT%VW == 5
s_cbranch_vccnz label_0232                         // branch to shift d1 r=5
v_cmp_eq_u32 vcc, v101, 0x6                        // wgMT%VW == 6
s_cbranch_vccnz label_0235                         // branch to shift d1 r=6
v_cmp_eq_u32 vcc, v101, 0x7                        // wgMT%VW == 7
s_cbranch_vccnz label_0238                         // branch to shift d1 r=7
s_branch label_0241                                // no shifting

/******************************************/
/* shift d1 r=1                           */
/******************************************/
label_0220:
v_cmp_eq_u32 vcc, v98, 0x0                         // 
s_cbranch_vccnz label_0221                         // branch to shift d1 r1 mb0

/******************************************/
/* shift d1 r=2                           */
/******************************************/
label_0223:
v_cmp_eq_u32 vcc, v98, 0x0                         // 
s_cbranch_vccnz label_0224                         // branch to shift d1 r2 mb0

/******************************************/
/* shift d1 r=3                           */
/******************************************/
label_0226:
v_cmp_eq_u32 vcc, v98, 0x0                         // 
s_cbranch_vccnz label_0227                         // branch to shift d1 r3 mb0

/******************************************/
/* shift d1 r=4                           */
/******************************************/
label_0229:
v_cmp_eq_u32 vcc, v98, 0x0                         // 
s_cbranch_vccnz label_0230                         // branch to shift d1 r4 mb0

/******************************************/
/* shift d1 r=5                           */
/******************************************/
label_0232:
v_cmp_eq_u32 vcc, v98, 0x0                         // 
s_cbranch_vccnz label_0233                         // branch to shift d1 r5 mb0

/******************************************/
/* shift d1 r=6                           */
/******************************************/
label_0235:
v_cmp_eq_u32 vcc, v98, 0x0                         // 
s_cbranch_vccnz label_0236                         // branch to shift d1 r6 mb0

/******************************************/
/* shift d1 r=7                           */
/******************************************/
label_0238:
v_cmp_eq_u32 vcc, v98, 0x0                         // 
s_cbranch_vccnz label_0239                         // branch to shift d1 r7 mb0

/******************************************/
/* shift d1 r=1 mb=0                      */
/******************************************/
label_0221: // r1 mb0 
v_cmp_eq_u32 vcc, v99, 0x0                         // 
s_cbranch_vccnz label_0222                         // branch to shift d1 r1 mb0 vw0

/******************************************/
/* shift d1 r=2 mb=0                      */
/******************************************/
label_0224: // r2 mb0 
v_cmp_eq_u32 vcc, v99, 0x0                         // 
s_cbranch_vccnz label_0225                         // branch to shift d1 r2 mb0 vw0

/******************************************/
/* shift d1 r=3 mb=0                      */
/******************************************/
label_0227: // r3 mb0 
v_cmp_eq_u32 vcc, v99, 0x0                         // 
s_cbranch_vccnz label_0228                         // branch to shift d1 r3 mb0 vw0

/******************************************/
/* shift d1 r=4 mb=0                      */
/******************************************/
label_0230: // r4 mb0 
v_cmp_eq_u32 vcc, v99, 0x0                         // 
s_cbranch_vccnz label_0231                         // branch to shift d1 r4 mb0 vw0

/******************************************/
/* shift d1 r=5 mb=0                      */
/******************************************/
label_0233: // r5 mb0 
v_cmp_eq_u32 vcc, v99, 0x0                         // 
s_cbranch_vccnz label_0234                         // branch to shift d1 r5 mb0 vw0

/******************************************/
/* shift d1 r=6 mb=0                      */
/******************************************/
label_0236: // r6 mb0 
v_cmp_eq_u32 vcc, v99, 0x0                         // 
s_cbranch_vccnz label_0237                         // branch to shift d1 r6 mb0 vw0

/******************************************/
/* shift d1 r=7 mb=0                      */
/******************************************/
label_0239: // r7 mb0 
v_cmp_eq_u32 vcc, v99, 0x0                         // 
s_cbranch_vccnz label_0240                         // branch to shift d1 r7 mb0 vw0

/******************************************/
/* shift d1 r=1 mb=0 vw0                  */
/******************************************/
label_0222: // r1 mb0 vw0 
s_mov_b32 s10, 0                                   // 
_v_cmpx_eq_u32 s[10:11], v100, s10                 // is thread in edge glvw region
v_and_b32 v96, 63, v[vgprSerial]                   // permute register between threads
v_lshlrev_b32 v96, 2, v96                          // permute register between threads
v_mov_b32 v101, v48                                // glvw 1 mb 0 tt1 0 r 0
ds_bpermute_b32 v101, v96, v101, offset:12         // permute edge values
s_waitcnt 0                                        // wait for swizzle operation
v_mov_b32 v0, v101                                 // 
v_mov_b32 v101, v49                                // glvw 1 mb 0 tt1 1 r 0
ds_bpermute_b32 v101, v96, v101, offset:12         // permute edge values
s_waitcnt 0                                        // wait for swizzle operation
v_mov_b32 v1, v101                                 // 
	;; [unrolled: 4-line block ×10, first 2 shown]
v_mov_b32 v101, v58                                // glvw 1 mb 0 tt1 10 r 0
ds_bpermute_b32 v101, v96, v101, offset:12         // permute edge values
s_waitcnt 0                                        // wait for swizzle operation
v_mov_b32 v10, v101                                // 
v_mov_b32 v101, v59                                // glvw 1 mb 0 tt1 11 r 0
ds_bpermute_b32 v101, v96, v101, offset:12         // permute edge values
s_waitcnt 0                                        // wait for swizzle operation
v_mov_b32 v11, v101                                // 
	;; [unrolled: 4-line block ×38, first 2 shown]
s_mov_b64 s[10:11], 0xFFFFFFFFFFFFFFFF             // to restore all threads active
s_or_saveexec_b64 vcc, s[10:11]                    // all threads active
s_branch label_0241                                // done shifting


/******************************************/
/* shift d1 r=2 mb=0 vw0                  */
/******************************************/
label_0225: // r2 mb0 vw0 
s_mov_b32 s10, 0                                   // 
_v_cmpx_eq_u32 s[10:11], v100, s10                 // is thread in edge glvw region
v_and_b32 v96, 63, v[vgprSerial]                   // permute register between threads
v_lshlrev_b32 v96, 2, v96                          // permute register between threads
v_mov_b32 v101, v0                                 // glvw 2 mb 0 tt1 0 r 0
v_mov_b32 v102, v48                                // glvw 2 mb 0 tt1 0 r 0
ds_bpermute_b32 v101, v96, v101, offset:12         // permute edge values
ds_bpermute_b32 v102, v96, v102, offset:12         // permute edge values
s_waitcnt 0                                        // wait for swizzle operation
v_mov_b32 v0, v101                                 // 
v_mov_b32 v48, v102                                // 
v_mov_b32 v101, v1                                 // glvw 2 mb 0 tt1 1 r 0
v_mov_b32 v102, v49                                // glvw 2 mb 0 tt1 1 r 0
ds_bpermute_b32 v101, v96, v101, offset:12         // permute edge values
ds_bpermute_b32 v102, v96, v102, offset:12         // permute edge values
s_waitcnt 0                                        // wait for swizzle operation
v_mov_b32 v1, v101                                 // 
v_mov_b32 v49, v102                                // 
	;; [unrolled: 7-line block ×10, first 2 shown]
v_mov_b32 v101, v10                                // glvw 2 mb 0 tt1 10 r 0
v_mov_b32 v102, v58                                // glvw 2 mb 0 tt1 10 r 0
ds_bpermute_b32 v101, v96, v101, offset:12         // permute edge values
ds_bpermute_b32 v102, v96, v102, offset:12         // permute edge values
s_waitcnt 0                                        // wait for swizzle operation
v_mov_b32 v10, v101                                // 
v_mov_b32 v58, v102                                // 
v_mov_b32 v101, v11                                // glvw 2 mb 0 tt1 11 r 0
v_mov_b32 v102, v59                                // glvw 2 mb 0 tt1 11 r 0
ds_bpermute_b32 v101, v96, v101, offset:12         // permute edge values
ds_bpermute_b32 v102, v96, v102, offset:12         // permute edge values
s_waitcnt 0                                        // wait for swizzle operation
v_mov_b32 v11, v101                                // 
v_mov_b32 v59, v102                                // 
	;; [unrolled: 7-line block ×38, first 2 shown]
s_mov_b64 s[10:11], 0xFFFFFFFFFFFFFFFF             // to restore all threads active
s_or_saveexec_b64 vcc, s[10:11]                    // all threads active
s_branch label_0241                                // done shifting


/******************************************/
/* shift d1 r=3 mb=0 vw0                  */
/******************************************/
label_0228: // r3 mb0 vw0 
s_mov_b32 s10, 0                                   // 
_v_cmpx_eq_u32 s[10:11], v100, s10                 // is thread in edge glvw region
v_and_b32 v96, 63, v[vgprSerial]                   // permute register between threads
v_lshlrev_b32 v96, 2, v96                          // permute register between threads
v_mov_b32 v101, v48                                // glvw 3 mb 0 tt1 0 r 0
v_mov_b32 v102, v0                                 // glvw 3 mb 0 tt1 0 r 0
ds_bpermute_b32 v101, v96, v101, offset:8          // permute edge values
ds_bpermute_b32 v102, v96, v102, offset:12         // permute edge values
s_waitcnt 0                                        // wait for swizzle operation
v_mov_b32 v0, v101                                 // 
v_mov_b32 v48, v102                                // 
v_mov_b32 v101, v49                                // glvw 3 mb 0 tt1 1 r 0
v_mov_b32 v102, v1                                 // glvw 3 mb 0 tt1 1 r 0
ds_bpermute_b32 v101, v96, v101, offset:8          // permute edge values
ds_bpermute_b32 v102, v96, v102, offset:12         // permute edge values
s_waitcnt 0                                        // wait for swizzle operation
v_mov_b32 v1, v101                                 // 
v_mov_b32 v49, v102                                // 
	;; [unrolled: 7-line block ×10, first 2 shown]
v_mov_b32 v101, v58                                // glvw 3 mb 0 tt1 10 r 0
v_mov_b32 v102, v10                                // glvw 3 mb 0 tt1 10 r 0
ds_bpermute_b32 v101, v96, v101, offset:8          // permute edge values
ds_bpermute_b32 v102, v96, v102, offset:12         // permute edge values
s_waitcnt 0                                        // wait for swizzle operation
v_mov_b32 v10, v101                                // 
v_mov_b32 v58, v102                                // 
v_mov_b32 v101, v59                                // glvw 3 mb 0 tt1 11 r 0
v_mov_b32 v102, v11                                // glvw 3 mb 0 tt1 11 r 0
ds_bpermute_b32 v101, v96, v101, offset:8          // permute edge values
ds_bpermute_b32 v102, v96, v102, offset:12         // permute edge values
s_waitcnt 0                                        // wait for swizzle operation
v_mov_b32 v11, v101                                // 
v_mov_b32 v59, v102                                // 
	;; [unrolled: 7-line block ×38, first 2 shown]
s_mov_b64 s[10:11], 0xFFFFFFFFFFFFFFFF             // to restore all threads active
s_or_saveexec_b64 vcc, s[10:11]                    // all threads active
s_branch label_0241                                // done shifting


/******************************************/
/* shift d1 r=4 mb=0 vw0                  */
/******************************************/
label_0231: // r4 mb0 vw0 
s_mov_b32 s10, 0                                   // 
_v_cmpx_eq_u32 s[10:11], v100, s10                 // is thread in edge glvw region
v_and_b32 v96, 63, v[vgprSerial]                   // permute register between threads
v_lshlrev_b32 v96, 2, v96                          // permute register between threads
v_mov_b32 v101, v0                                 // glvw 4 mb 0 tt1 0 r 0
v_mov_b32 v102, v48                                // glvw 4 mb 0 tt1 0 r 0
ds_bpermute_b32 v101, v96, v101, offset:8          // permute edge values
ds_bpermute_b32 v102, v96, v102, offset:8          // permute edge values
s_waitcnt 0                                        // wait for swizzle operation
v_mov_b32 v0, v101                                 // 
v_mov_b32 v48, v102                                // 
v_mov_b32 v101, v1                                 // glvw 4 mb 0 tt1 1 r 0
v_mov_b32 v102, v49                                // glvw 4 mb 0 tt1 1 r 0
ds_bpermute_b32 v101, v96, v101, offset:8          // permute edge values
ds_bpermute_b32 v102, v96, v102, offset:8          // permute edge values
s_waitcnt 0                                        // wait for swizzle operation
v_mov_b32 v1, v101                                 // 
v_mov_b32 v49, v102                                // 
v_mov_b32 v101, v2                                 // glvw 4 mb 0 tt1 2 r 0
v_mov_b32 v102, v50                                // glvw 4 mb 0 tt1 2 r 0
ds_bpermute_b32 v101, v96, v101, offset:8          // permute edge values
ds_bpermute_b32 v102, v96, v102, offset:8          // permute edge values
s_waitcnt 0                                        // wait for swizzle operation
v_mov_b32 v2, v101                                 // 
v_mov_b32 v50, v102                                // 
v_mov_b32 v101, v3                                 // glvw 4 mb 0 tt1 3 r 0
v_mov_b32 v102, v51                                // glvw 4 mb 0 tt1 3 r 0
ds_bpermute_b32 v101, v96, v101, offset:8          // permute edge values
ds_bpermute_b32 v102, v96, v102, offset:8          // permute edge values
s_waitcnt 0                                        // wait for swizzle operation
v_mov_b32 v3, v101                                 // 
v_mov_b32 v51, v102                                // 
v_mov_b32 v101, v4                                 // glvw 4 mb 0 tt1 4 r 0
v_mov_b32 v102, v52                                // glvw 4 mb 0 tt1 4 r 0
ds_bpermute_b32 v101, v96, v101, offset:8          // permute edge values
ds_bpermute_b32 v102, v96, v102, offset:8          // permute edge values
s_waitcnt 0                                        // wait for swizzle operation
v_mov_b32 v4, v101                                 // 
v_mov_b32 v52, v102                                // 
v_mov_b32 v101, v5                                 // glvw 4 mb 0 tt1 5 r 0
v_mov_b32 v102, v53                                // glvw 4 mb 0 tt1 5 r 0
ds_bpermute_b32 v101, v96, v101, offset:8          // permute edge values
ds_bpermute_b32 v102, v96, v102, offset:8          // permute edge values
s_waitcnt 0                                        // wait for swizzle operation
v_mov_b32 v5, v101                                 // 
v_mov_b32 v53, v102                                // 
v_mov_b32 v101, v6                                 // glvw 4 mb 0 tt1 6 r 0
v_mov_b32 v102, v54                                // glvw 4 mb 0 tt1 6 r 0
ds_bpermute_b32 v101, v96, v101, offset:8          // permute edge values
ds_bpermute_b32 v102, v96, v102, offset:8          // permute edge values
s_waitcnt 0                                        // wait for swizzle operation
v_mov_b32 v6, v101                                 // 
v_mov_b32 v54, v102                                // 
v_mov_b32 v101, v7                                 // glvw 4 mb 0 tt1 7 r 0
v_mov_b32 v102, v55                                // glvw 4 mb 0 tt1 7 r 0
ds_bpermute_b32 v101, v96, v101, offset:8          // permute edge values
ds_bpermute_b32 v102, v96, v102, offset:8          // permute edge values
s_waitcnt 0                                        // wait for swizzle operation
v_mov_b32 v7, v101                                 // 
v_mov_b32 v55, v102                                // 
v_mov_b32 v101, v8                                 // glvw 4 mb 0 tt1 8 r 0
v_mov_b32 v102, v56                                // glvw 4 mb 0 tt1 8 r 0
ds_bpermute_b32 v101, v96, v101, offset:8          // permute edge values
ds_bpermute_b32 v102, v96, v102, offset:8          // permute edge values
s_waitcnt 0                                        // wait for swizzle operation
v_mov_b32 v8, v101                                 // 
v_mov_b32 v56, v102                                // 
v_mov_b32 v101, v9                                 // glvw 4 mb 0 tt1 9 r 0
v_mov_b32 v102, v57                                // glvw 4 mb 0 tt1 9 r 0
ds_bpermute_b32 v101, v96, v101, offset:8          // permute edge values
ds_bpermute_b32 v102, v96, v102, offset:8          // permute edge values
s_waitcnt 0                                        // wait for swizzle operation
v_mov_b32 v9, v101                                 // 
v_mov_b32 v57, v102                                // 
v_mov_b32 v101, v10                                // glvw 4 mb 0 tt1 10 r 0
v_mov_b32 v102, v58                                // glvw 4 mb 0 tt1 10 r 0
ds_bpermute_b32 v101, v96, v101, offset:8          // permute edge values
ds_bpermute_b32 v102, v96, v102, offset:8          // permute edge values
s_waitcnt 0                                        // wait for swizzle operation
v_mov_b32 v10, v101                                // 
v_mov_b32 v58, v102                                // 
v_mov_b32 v101, v11                                // glvw 4 mb 0 tt1 11 r 0
v_mov_b32 v102, v59                                // glvw 4 mb 0 tt1 11 r 0
ds_bpermute_b32 v101, v96, v101, offset:8          // permute edge values
ds_bpermute_b32 v102, v96, v102, offset:8          // permute edge values
s_waitcnt 0                                        // wait for swizzle operation
v_mov_b32 v11, v101                                // 
v_mov_b32 v59, v102                                // 
	;; [unrolled: 7-line block ×38, first 2 shown]
s_mov_b64 s[10:11], 0xFFFFFFFFFFFFFFFF             // to restore all threads active
s_or_saveexec_b64 vcc, s[10:11]                    // all threads active
s_branch label_0241                                // done shifting


/******************************************/
/* shift d1 r=5 mb=0 vw0                  */
/******************************************/
label_0234: // r5 mb0 vw0 
s_mov_b32 s10, 0                                   // 
_v_cmpx_eq_u32 s[10:11], v100, s10                 // is thread in edge glvw region
v_and_b32 v96, 63, v[vgprSerial]                   // permute register between threads
v_lshlrev_b32 v96, 2, v96                          // permute register between threads
v_mov_b32 v101, v48                                // glvw 5 mb 0 tt1 0 r 0
v_mov_b32 v102, v0                                 // glvw 5 mb 0 tt1 0 r 0
ds_bpermute_b32 v101, v96, v101, offset:4          // permute edge values
ds_bpermute_b32 v102, v96, v102, offset:8          // permute edge values
s_waitcnt 0                                        // wait for swizzle operation
v_mov_b32 v0, v101                                 // 
v_mov_b32 v48, v102                                // 
v_mov_b32 v101, v49                                // glvw 5 mb 0 tt1 1 r 0
v_mov_b32 v102, v1                                 // glvw 5 mb 0 tt1 1 r 0
ds_bpermute_b32 v101, v96, v101, offset:4          // permute edge values
ds_bpermute_b32 v102, v96, v102, offset:8          // permute edge values
s_waitcnt 0                                        // wait for swizzle operation
v_mov_b32 v1, v101                                 // 
v_mov_b32 v49, v102                                // 
	;; [unrolled: 7-line block ×10, first 2 shown]
v_mov_b32 v101, v58                                // glvw 5 mb 0 tt1 10 r 0
v_mov_b32 v102, v10                                // glvw 5 mb 0 tt1 10 r 0
ds_bpermute_b32 v101, v96, v101, offset:4          // permute edge values
ds_bpermute_b32 v102, v96, v102, offset:8          // permute edge values
s_waitcnt 0                                        // wait for swizzle operation
v_mov_b32 v10, v101                                // 
v_mov_b32 v58, v102                                // 
v_mov_b32 v101, v59                                // glvw 5 mb 0 tt1 11 r 0
v_mov_b32 v102, v11                                // glvw 5 mb 0 tt1 11 r 0
ds_bpermute_b32 v101, v96, v101, offset:4          // permute edge values
ds_bpermute_b32 v102, v96, v102, offset:8          // permute edge values
s_waitcnt 0                                        // wait for swizzle operation
v_mov_b32 v11, v101                                // 
v_mov_b32 v59, v102                                // 
	;; [unrolled: 7-line block ×38, first 2 shown]
s_mov_b64 s[10:11], 0xFFFFFFFFFFFFFFFF             // to restore all threads active
s_or_saveexec_b64 vcc, s[10:11]                    // all threads active
s_branch label_0241                                // done shifting


/******************************************/
/* shift d1 r=6 mb=0 vw0                  */
/******************************************/
label_0237: // r6 mb0 vw0 
s_mov_b32 s10, 0                                   // 
_v_cmpx_eq_u32 s[10:11], v100, s10                 // is thread in edge glvw region
v_and_b32 v96, 63, v[vgprSerial]                   // permute register between threads
v_lshlrev_b32 v96, 2, v96                          // permute register between threads
v_mov_b32 v101, v0                                 // glvw 6 mb 0 tt1 0 r 0
v_mov_b32 v102, v48                                // glvw 6 mb 0 tt1 0 r 0
ds_bpermute_b32 v101, v96, v101, offset:4          // permute edge values
ds_bpermute_b32 v102, v96, v102, offset:4          // permute edge values
s_waitcnt 0                                        // wait for swizzle operation
v_mov_b32 v0, v101                                 // 
v_mov_b32 v48, v102                                // 
v_mov_b32 v101, v1                                 // glvw 6 mb 0 tt1 1 r 0
v_mov_b32 v102, v49                                // glvw 6 mb 0 tt1 1 r 0
ds_bpermute_b32 v101, v96, v101, offset:4          // permute edge values
ds_bpermute_b32 v102, v96, v102, offset:4          // permute edge values
s_waitcnt 0                                        // wait for swizzle operation
v_mov_b32 v1, v101                                 // 
v_mov_b32 v49, v102                                // 
	;; [unrolled: 7-line block ×10, first 2 shown]
v_mov_b32 v101, v10                                // glvw 6 mb 0 tt1 10 r 0
v_mov_b32 v102, v58                                // glvw 6 mb 0 tt1 10 r 0
ds_bpermute_b32 v101, v96, v101, offset:4          // permute edge values
ds_bpermute_b32 v102, v96, v102, offset:4          // permute edge values
s_waitcnt 0                                        // wait for swizzle operation
v_mov_b32 v10, v101                                // 
v_mov_b32 v58, v102                                // 
v_mov_b32 v101, v11                                // glvw 6 mb 0 tt1 11 r 0
v_mov_b32 v102, v59                                // glvw 6 mb 0 tt1 11 r 0
ds_bpermute_b32 v101, v96, v101, offset:4          // permute edge values
ds_bpermute_b32 v102, v96, v102, offset:4          // permute edge values
s_waitcnt 0                                        // wait for swizzle operation
v_mov_b32 v11, v101                                // 
v_mov_b32 v59, v102                                // 
	;; [unrolled: 7-line block ×38, first 2 shown]
s_mov_b64 s[10:11], 0xFFFFFFFFFFFFFFFF             // to restore all threads active
s_or_saveexec_b64 vcc, s[10:11]                    // all threads active
s_branch label_0241                                // done shifting


/******************************************/
/* shift d1 r=7 mb=0 vw0                  */
/******************************************/
label_0240: // r7 mb0 vw0 
s_mov_b32 s10, 0                                   // 
_v_cmpx_eq_u32 s[10:11], v100, s10                 // is thread in edge glvw region
v_and_b32 v96, 63, v[vgprSerial]                   // permute register between threads
v_lshlrev_b32 v96, 2, v96                          // permute register between threads
v_mov_b32 v101, v48                                // glvw 7 mb 0 tt1 0 r 0
v_mov_b32 v102, v0                                 // glvw 7 mb 0 tt1 0 r 0
ds_bpermute_b32 v102, v96, v102, offset:4          // permute edge values
s_waitcnt 0                                        // wait for swizzle operation
v_mov_b32 v0, v101                                 // 
v_mov_b32 v48, v102                                // 
v_mov_b32 v101, v49                                // glvw 7 mb 0 tt1 1 r 0
v_mov_b32 v102, v1                                 // glvw 7 mb 0 tt1 1 r 0
ds_bpermute_b32 v102, v96, v102, offset:4          // permute edge values
s_waitcnt 0                                        // wait for swizzle operation
v_mov_b32 v1, v101                                 // 
v_mov_b32 v49, v102                                // 
	;; [unrolled: 6-line block ×10, first 2 shown]
v_mov_b32 v101, v58                                // glvw 7 mb 0 tt1 10 r 0
v_mov_b32 v102, v10                                // glvw 7 mb 0 tt1 10 r 0
ds_bpermute_b32 v102, v96, v102, offset:4          // permute edge values
s_waitcnt 0                                        // wait for swizzle operation
v_mov_b32 v10, v101                                // 
v_mov_b32 v58, v102                                // 
v_mov_b32 v101, v59                                // glvw 7 mb 0 tt1 11 r 0
v_mov_b32 v102, v11                                // glvw 7 mb 0 tt1 11 r 0
ds_bpermute_b32 v102, v96, v102, offset:4          // permute edge values
s_waitcnt 0                                        // wait for swizzle operation
v_mov_b32 v11, v101                                // 
v_mov_b32 v59, v102                                // 
	;; [unrolled: 6-line block ×38, first 2 shown]
s_mov_b64 s[10:11], 0xFFFFFFFFFFFFFFFF             // to restore all threads active
s_or_saveexec_b64 vcc, s[10:11]                    // all threads active
s_branch label_0241                                // done shifting

label_0241: // end shift0


	;; [unrolled: 1-line block ×3, first 2 shown]
/* not-LocalSplitU: global write indices */

/* computeStoreVgprs */
v_lshrrev_b32 v100, 6, v[vgprSerial]               // v100 = v[vgprSerial] / 64
v_lshrrev_b32 v97, 1, v100                         // v97 = v100 / 2
v_mul_lo_u32 v97, 0x20, v97                        // wave coordination offset 1
v_and_b32 v101, 31, v[vgprSerial]                  // v101 = v[vgprSerial] % 32
_v_add_lshl_u32 v97, v101, v97, 1                  // coordination 1 = vwb *(wave_id1 + tid1)
v_mul_lo_u32 v98, v97, s[sgprStrideC1J]            //  offset 1
v_mul_lo_u32 v99, v97, s[sgprStrideD1J]            //  offset 1
v_and_b32 v96, 63, v[vgprSerial]                   // v96 = v[vgprSerial] % 64
v_lshrrev_b32 v96, 5, v96                          // v96 = v96 / 32
v_lshlrev_b32 v96, 0x2, v96                        // thread0 * continuous_output
v_and_b32 v101, 1, v100                            // v101 = v100 % 2
v_mul_lo_u32 v101, 0x20, v101                      // wave coordination offset 0
_v_add_lshl_u32 v96, v101, v96, 0                  // coordination 0 = vwa *(wave_id0 + tid0)
s_mul_i32 s10, 192, s[sgprWorkGroup0]              // wgp0 * MT0
_v_add_u32 v96, s10, v96                           // coord 0 = (tid0/MI_m)*4 + waveG0*MIB_m + MT0*SG0
s_mul_i32 s10, 128, s[sgprWorkGroup1]              // wgp1 * MT1
_v_add_u32 v97, s10, v97                           // coord 1 = (tid0%MI_m) + waveG1*MIB_n + MT1*SG1


/* not-LocalSplitU: global write */

s_mov_b32 s61, 0x0                                 // STATIC_DIV: divisior=192
s_mul_i32 s60, 0x2aa, s[sgprSizeI]                 // tmp1 = dividend * magic hi
s_lshl_b64 s[60:61], s[60:61], 0x10                // left shift 16 bits
s_mul_i32 s59, s[sgprSizeI], 0xaaab                // tmp0 = dividend * magic lo
s_add_u32 s60, s59, s60                            // add lo
s_addc_u32 s61, s61, 0x0                           // add hi
s_lshr_b64 s[60:61], s[60:61], 0x21                // tmp1 = (dividend * magic) << shift
s_mov_b32 s59, s60                                 // quotient
s_mul_i32 s60, s59, 0xc0                           // quotient*divisor
s_sub_u32 s58, s[sgprSizeI], s60                   // rReg = dividend - quotient*divisor
s_add_u32 s59, -0x1, s[sgprNumWorkGroups0]         // 
s_cmp_ge_u32 s[sgprWorkGroup0], s59                // wg0 >= nwg0-1 ?
s_cselect_b32 s58, s58, 0                          // set rMT0
s_cmpk_gt_u32 s58, 0x0                             // rMT0 > 0
s_cbranch_scc1 GW_B0_E1_249                        // jump if edges required
s_and_b32 s58, 127, s[sgprSizeJ]                   // s58 = s[sgprSizeJ] % 128
s_add_u32 s59, -0x1, s[sgprNumWorkGroups1]         // 
s_cmp_ge_u32 s[sgprWorkGroup1], s59                // wg1 >= nwg1-1
s_cselect_b32 s58, s58, 0                          // set rMT1
s_cmpk_gt_u32 s58, 0x0                             // rMT1 > 0
s_cbranch_scc1 GW_B0_E1_249                        // jump if edges required
GW_B0_E0_246:

/* edge=0, allocate 2 sgpr. perBatchTmpS=2 perBatchMaskS=0 perElementMaskS=0 elementsPerBatch=36 */
/* optSingleColVgpr=1 optSharedColVgpr=0 optSGPRUsage=BufferLoad_Mask optSrdIncForRow=1 */

/******************************************/
/* Global Write Alpha Batch #0 (d1,d0,vc1,vc0) = */
/*    (0,0,0,0:vw4); (0,1,0,0:vw4); (0,2,0,0:vw4); (0,3,0,0:vw4); (0,4,0,0:vw4); (0,5,0,0:vw4); (0,6,0,0:vw4); (0,7,0,0:vw4); (0,8,0,0:vw4); (0,9,0,0:vw4); (0,10,0,0:vw4); (0,11,0,0:vw4); (0,0,1,0:vw4); (0,1,1,0:vw4); (0,2,1,0:vw4); (0,3,1,0:vw4); (0,4,1,0:vw4); (0,5,1,0:vw4); (0,6,1,0:vw4); (0,7,1,0:vw4); (0,8,1,0:vw4); (0,9,1,0:vw4); (0,10,1,0:vw4); (0,11,1,0:vw4) */
/******************************************/

/* calc coords, apply mask, and issue loads (if necessary) */
/* (d1,vc1,d0,vc0)=(0,0,0,0) */
/* (d1,vc1,d0,vc0)=(0,0,1,0) */
	;; [unrolled: 1-line block ×24, first 2 shown]
_v_add_lshl_u32 v102, v99, v96, 0x2                // optSingleColVgpr scaleToBpe: sharedAddrVgpr <- cinRowPtr + coord0, scaled by BPE. BSHERE:coord0=96, coord0Vgpr=96
v_mov_b32 v[vgprValuC+104], v[vgprValuC+0] // copy MI out reg to vreg[0]
v_mov_b32 v[vgprValuC+105], v[vgprValuC+1] // copy MI out reg to vreg[1]
	;; [unrolled: 1-line block ×96, first 2 shown]

/* rC *= alpha batchElements=[(0, 0, 0, 0), (0, 1, 0, 0), (0, 2, 0, 0), (0, 3, 0, 0), (0, 4, 0, 0), (0, 5, 0, 0), (0, 6, 0, 0), (0, 7, 0, 0), (0, 8, 0, 0), (0, 9, 0, 0), (0, 10, 0, 0), (0, 11, 0, 0), (0, 0, 1, 0), (0, 1, 1, 0), (0, 2, 1, 0), (0, 3, 1, 0), (0, 4, 1, 0), (0, 5, 1, 0), (0, 6, 1, 0), (0, 7, 1, 0), (0, 8, 1, 0), (0, 9, 1, 0), (0, 10, 1, 0), (0, 11, 1, 0)] */

/* apply mask, calc new C and issue writes */
_buffer_store_b128 v[104:107], v102, s[sgprSrdD:sgprSrdD+3], 0, offen, offset:0 // store D
_buffer_store_b128 v[108:111], v102, s[sgprSrdD:sgprSrdD+3], 0, offen, offset:32 // store D
	;; [unrolled: 1-line block ×12, first 2 shown]
s_lshl_b32  s10, s[sgprStrideD1J], 2               // incToNextRow: Scale by BPE
s_add_u32  s[sgprSrdD+0], s[sgprSrdD+0], s10       // incToNextRow: gra SRD += inc(lower)
s_addc_u32  s[sgprSrdD+1], s[sgprSrdD+1], 0        // incToNextRow: gra SRD += inc(upper)
_buffer_store_b128 v[152:155], v102, s[sgprSrdD:sgprSrdD+3], 0, offen, offset:0 // store D
_buffer_store_b128 v[156:159], v102, s[sgprSrdD:sgprSrdD+3], 0, offen, offset:32 // store D
	;; [unrolled: 1-line block ×12, first 2 shown]
s_nop 0                                            // 1 wait state required when next inst writes vgprs held by previous dwordx4 store inst
s_branch label_GW_End_251                          // jump to end
GW_B0_E1_249:

/* edge=1, allocate 6 sgpr. perBatchTmpS=4 perBatchMaskS=2 perElementMaskS=0 elementsPerBatch=74 */
/* optSingleColVgpr=0 optSharedColVgpr=0 optSGPRUsage=BufferLoad_Edge_Mask optSrdIncForRow=0 */

/******************************************/
/* Global Write Alpha Edge Batch #0 (d1,d0,vc1,vc0) = */
/*    (0,0,0,0:vw1); (0,0,0,1:vw1); (0,0,0,2:vw1); (0,0,0,3:vw1); (0,1,0,0:vw1); (0,1,0,1:vw1); (0,1,0,2:vw1); (0,1,0,3:vw1); (0,2,0,0:vw1); (0,2,0,1:vw1); (0,2,0,2:vw1); (0,2,0,3:vw1); (0,3,0,0:vw1); (0,3,0,1:vw1); (0,3,0,2:vw1); (0,3,0,3:vw1); (0,4,0,0:vw1); (0,4,0,1:vw1); (0,4,0,2:vw1); (0,4,0,3:vw1); (0,5,0,0:vw1); (0,5,0,1:vw1); (0,5,0,2:vw1); (0,5,0,3:vw1); (0,6,0,0:vw1); (0,6,0,1:vw1); (0,6,0,2:vw1); (0,6,0,3:vw1); (0,7,0,0:vw1); (0,7,0,1:vw1); (0,7,0,2:vw1); (0,7,0,3:vw1); (0,8,0,0:vw1); (0,8,0,1:vw1); (0,8,0,2:vw1); (0,8,0,3:vw1); (0,9,0,0:vw1); (0,9,0,1:vw1); (0,9,0,2:vw1); (0,9,0,3:vw1); (0,10,0,0:vw1); (0,10,0,1:vw1); (0,10,0,2:vw1); (0,10,0,3:vw1); (0,11,0,0:vw1); (0,11,0,1:vw1); (0,11,0,2:vw1); (0,11,0,3:vw1); (0,0,1,0:vw1); (0,0,1,1:vw1); (0,0,1,2:vw1); (0,0,1,3:vw1); (0,1,1,0:vw1); (0,1,1,1:vw1); (0,1,1,2:vw1); (0,1,1,3:vw1); (0,2,1,0:vw1); (0,2,1,1:vw1); (0,2,1,2:vw1); (0,2,1,3:vw1); (0,3,1,0:vw1); (0,3,1,1:vw1); (0,3,1,2:vw1); (0,3,1,3:vw1); (0,4,1,0:vw1); (0,4,1,1:vw1); (0,4,1,2:vw1); (0,4,1,3:vw1); (0,5,1,0:vw1); (0,5,1,1:vw1); (0,5,1,2:vw1); (0,5,1,3:vw1); (0,6,1,0:vw1); (0,6,1,1:vw1) */
/******************************************/

/* calc coords, apply mask, and issue loads (if necessary) */
/* (d1,vc1,d0,vc0)=(0,0,0,0) */
v_cmp_lt_u32 s[58:59], v96, s[sgprSizeI]           // coord0 < size0
v_cmp_lt_u32 s[62:63], v97, s[sgprSizeJ]           // coord1 < size1
s_and_b64 s[62:63], s[58:59], s[62:63]             // in0 && in1
_v_add_lshl_u32 v102, v99, v96, 0x2                // scaleToBpe: accumulate d0 lower and *= bpe into Cin addr
v_cndmask_b32 v102, -1, v102, s[62:63]             // LDD clip if OOB. offset
/* (d1,vc1,d0,vc0)=(0,0,0,1) */
_v_add_co_u32 v100, vcc, v96, 1                    // coord0.1: coord0 += d0*sg0*VW + vc0
v_cmp_lt_u32 s[58:59], v100, s[sgprSizeI]          // coord0 < size0
v_cmp_lt_u32 s[62:63], v97, s[sgprSizeJ]           // coord1 < size1
s_and_b64 s[62:63], s[58:59], s[62:63]             // in0 && in1
_v_add_lshl_u32 v104, v99, v100, 0x2               // scaleToBpe: accumulate d0 lower and *= bpe into Cin addr
v_cndmask_b32 v104, -1, v104, s[62:63]             // LDD clip if OOB. offset
/* (d1,vc1,d0,vc0)=(0,0,0,2) */
_v_add_co_u32 v100, vcc, v96, 2                    // coord0.1: coord0 += d0*sg0*VW + vc0
v_cmp_lt_u32 s[58:59], v100, s[sgprSizeI]          // coord0 < size0
v_cmp_lt_u32 s[62:63], v97, s[sgprSizeJ]           // coord1 < size1
s_and_b64 s[62:63], s[58:59], s[62:63]             // in0 && in1
_v_add_lshl_u32 v106, v99, v100, 0x2               // scaleToBpe: accumulate d0 lower and *= bpe into Cin addr
	;; [unrolled: 7-line block ×5, first 2 shown]
v_cndmask_b32 v112, -1, v112, s[62:63]             // LDD clip if OOB. offset
/* (d1,vc1,d0,vc0)=(0,0,1,2) */
_v_add_co_u32 v100, vcc, v96, 10                   // coord0.1: coord0 += d0*sg0*VW + vc0
v_cmp_lt_u32 s[58:59], v100, s[sgprSizeI]          // coord0 < size0
v_cmp_lt_u32 s[62:63], v97, s[sgprSizeJ]           // coord1 < size1
s_and_b64 s[62:63], s[58:59], s[62:63]             // in0 && in1
_v_add_lshl_u32 v114, v99, v100, 0x2               // scaleToBpe: accumulate d0 lower and *= bpe into Cin addr
v_cndmask_b32 v114, -1, v114, s[62:63]             // LDD clip if OOB. offset
/* (d1,vc1,d0,vc0)=(0,0,1,3) */
_v_add_co_u32 v100, vcc, v96, 11                   // coord0.1: coord0 += d0*sg0*VW + vc0
v_cmp_lt_u32 s[58:59], v100, s[sgprSizeI]          // coord0 < size0
v_cmp_lt_u32 s[62:63], v97, s[sgprSizeJ]           // coord1 < size1
s_and_b64 s[62:63], s[58:59], s[62:63]             // in0 && in1
_v_add_lshl_u32 v116, v99, v100, 0x2               // scaleToBpe: accumulate d0 lower and *= bpe into Cin addr
	;; [unrolled: 7-line block ×11, first 2 shown]
v_cndmask_b32 v134, -1, v134, s[62:63]             // LDD clip if OOB. offset
/* (d1,vc1,d0,vc0)=(0,0,4,1) */
s_mov_b32 s58, 65                                  // coordOffset0 d0=4 vc0=1
_v_add_co_u32 v100, vcc, v96, s58                  // coord0.2: coord0 += d0*sg0*VW + vc0
v_cmp_lt_u32 s[58:59], v100, s[sgprSizeI]          // coord0 < size0
v_cmp_lt_u32 s[62:63], v97, s[sgprSizeJ]           // coord1 < size1
s_and_b64 s[62:63], s[58:59], s[62:63]             // in0 && in1
_v_add_lshl_u32 v136, v99, v100, 0x2               // scaleToBpe: accumulate d0 lower and *= bpe into Cin addr
v_cndmask_b32 v136, -1, v136, s[62:63]             // LDD clip if OOB. offset
/* (d1,vc1,d0,vc0)=(0,0,4,2) */
s_mov_b32 s58, 66                                  // coordOffset0 d0=4 vc0=2
_v_add_co_u32 v100, vcc, v96, s58                  // coord0.2: coord0 += d0*sg0*VW + vc0
v_cmp_lt_u32 s[58:59], v100, s[sgprSizeI]          // coord0 < size0
v_cmp_lt_u32 s[62:63], v97, s[sgprSizeJ]           // coord1 < size1
s_and_b64 s[62:63], s[58:59], s[62:63]             // in0 && in1
_v_add_lshl_u32 v138, v99, v100, 0x2               // scaleToBpe: accumulate d0 lower and *= bpe into Cin addr
	;; [unrolled: 8-line block ×15, first 2 shown]
v_cndmask_b32 v164, -1, v164, s[62:63]             // LDD clip if OOB. offset
/* (d1,vc1,d0,vc0)=(0,0,8,0) */
s_mov_b32 s58, 128                                 // coordOffset0 d0=8 vc0=0
_v_add_co_u32 v100, vcc, v96, s58                  // coord0.2: coord0 += d0*sg0*VW + vc0
v_cmp_lt_u32 s[58:59], v100, s[sgprSizeI]          // coord0 < size0
v_cmp_lt_u32 s[62:63], v97, s[sgprSizeJ]           // coord1 < size1
s_and_b64 s[62:63], s[58:59], s[62:63]             // in0 && in1
_v_add_lshl_u32 v166, v99, v100, 0x2               // scaleToBpe: accumulate d0 lower and *= bpe into Cin addr
v_cndmask_b32 v166, -1, v166, s[62:63]             // LDD clip if OOB. offset
/* (d1,vc1,d0,vc0)=(0,0,8,1) */
s_mov_b32 s58, 129                                 // coordOffset0 d0=8 vc0=1
_v_add_co_u32 v100, vcc, v96, s58                  // coord0.2: coord0 += d0*sg0*VW + vc0
v_cmp_lt_u32 s[58:59], v100, s[sgprSizeI]          // coord0 < size0
v_cmp_lt_u32 s[62:63], v97, s[sgprSizeJ]           // coord1 < size1
s_and_b64 s[62:63], s[58:59], s[62:63]             // in0 && in1
_v_add_lshl_u32 v168, v99, v100, 0x2               // scaleToBpe: accumulate d0 lower and *= bpe into Cin addr
	;; [unrolled: 8-line block ×16, first 2 shown]
v_cndmask_b32 v199, -1, v199, s[62:63]             // LDD clip if OOB. offset
/* (d1,vc1,d0,vc0)=(0,1,0,0) */
_v_add_co_u32 v97, vcc, v97, 1                     // coord1.1: coord1Vgpr += d1*sg1*VW + vc1

/* Fix for UseInitialStridesCD, emitAddressSetupCode */
_v_add_u32 v98, v98, s[sgprStrideC1J]              // ROWINC- Move cinRowPtr to next row
_v_add_u32 v99, v99, s[sgprStrideD1J]              // Move coutRowPtr to next row
v_cmp_lt_u32 s[58:59], v96, s[sgprSizeI]           // coord0 < size0
v_cmp_lt_u32 s[62:63], v97, s[sgprSizeJ]           // coord1 < size1
s_and_b64 s[62:63], s[58:59], s[62:63]             // in0 && in1
_v_add_lshl_u32 v201, v99, v96, 0x2                // scaleToBpe: accumulate d0 lower and *= bpe into Cin addr
v_cndmask_b32 v201, -1, v201, s[62:63]             // LDD clip if OOB. offset
/* (d1,vc1,d0,vc0)=(0,1,0,1) */
_v_add_co_u32 v100, vcc, v96, 1                    // coord0.1: coord0 += d0*sg0*VW + vc0
v_cmp_lt_u32 s[58:59], v100, s[sgprSizeI]          // coord0 < size0
v_cmp_lt_u32 s[62:63], v97, s[sgprSizeJ]           // coord1 < size1
s_and_b64 s[62:63], s[58:59], s[62:63]             // in0 && in1
_v_add_lshl_u32 v203, v99, v100, 0x2               // scaleToBpe: accumulate d0 lower and *= bpe into Cin addr
v_cndmask_b32 v203, -1, v203, s[62:63]             // LDD clip if OOB. offset
/* (d1,vc1,d0,vc0)=(0,1,0,2) */
_v_add_co_u32 v100, vcc, v96, 2                    // coord0.1: coord0 += d0*sg0*VW + vc0
v_cmp_lt_u32 s[58:59], v100, s[sgprSizeI]          // coord0 < size0
v_cmp_lt_u32 s[62:63], v97, s[sgprSizeJ]           // coord1 < size1
s_and_b64 s[62:63], s[58:59], s[62:63]             // in0 && in1
_v_add_lshl_u32 v205, v99, v100, 0x2               // scaleToBpe: accumulate d0 lower and *= bpe into Cin addr
	;; [unrolled: 7-line block ×5, first 2 shown]
v_cndmask_b32 v211, -1, v211, s[62:63]             // LDD clip if OOB. offset
/* (d1,vc1,d0,vc0)=(0,1,1,2) */
_v_add_co_u32 v100, vcc, v96, 10                   // coord0.1: coord0 += d0*sg0*VW + vc0
v_cmp_lt_u32 s[58:59], v100, s[sgprSizeI]          // coord0 < size0
v_cmp_lt_u32 s[62:63], v97, s[sgprSizeJ]           // coord1 < size1
s_and_b64 s[62:63], s[58:59], s[62:63]             // in0 && in1
_v_add_lshl_u32 v213, v99, v100, 0x2               // scaleToBpe: accumulate d0 lower and *= bpe into Cin addr
v_cndmask_b32 v213, -1, v213, s[62:63]             // LDD clip if OOB. offset
/* (d1,vc1,d0,vc0)=(0,1,1,3) */
_v_add_co_u32 v100, vcc, v96, 11                   // coord0.1: coord0 += d0*sg0*VW + vc0
v_cmp_lt_u32 s[58:59], v100, s[sgprSizeI]          // coord0 < size0
v_cmp_lt_u32 s[62:63], v97, s[sgprSizeJ]           // coord1 < size1
s_and_b64 s[62:63], s[58:59], s[62:63]             // in0 && in1
_v_add_lshl_u32 v215, v99, v100, 0x2               // scaleToBpe: accumulate d0 lower and *= bpe into Cin addr
	;; [unrolled: 7-line block ×11, first 2 shown]
v_cndmask_b32 v233, -1, v233, s[62:63]             // LDD clip if OOB. offset
/* (d1,vc1,d0,vc0)=(0,1,4,1) */
s_mov_b32 s58, 65                                  // coordOffset0 d0=4 vc0=1
_v_add_co_u32 v100, vcc, v96, s58                  // coord0.2: coord0 += d0*sg0*VW + vc0
v_cmp_lt_u32 s[58:59], v100, s[sgprSizeI]          // coord0 < size0
v_cmp_lt_u32 s[62:63], v97, s[sgprSizeJ]           // coord1 < size1
s_and_b64 s[62:63], s[58:59], s[62:63]             // in0 && in1
_v_add_lshl_u32 v235, v99, v100, 0x2               // scaleToBpe: accumulate d0 lower and *= bpe into Cin addr
v_cndmask_b32 v235, -1, v235, s[62:63]             // LDD clip if OOB. offset
/* (d1,vc1,d0,vc0)=(0,1,4,2) */
s_mov_b32 s58, 66                                  // coordOffset0 d0=4 vc0=2
_v_add_co_u32 v100, vcc, v96, s58                  // coord0.2: coord0 += d0*sg0*VW + vc0
v_cmp_lt_u32 s[58:59], v100, s[sgprSizeI]          // coord0 < size0
v_cmp_lt_u32 s[62:63], v97, s[sgprSizeJ]           // coord1 < size1
s_and_b64 s[62:63], s[58:59], s[62:63]             // in0 && in1
_v_add_lshl_u32 v237, v99, v100, 0x2               // scaleToBpe: accumulate d0 lower and *= bpe into Cin addr
	;; [unrolled: 8-line block ×9, first 2 shown]
v_cndmask_b32 v251, -1, v251, s[62:63]             // LDD clip if OOB. offset
v_mov_b32 v[vgprValuC+103], v[vgprValuC+0] // copy MI out reg to vreg[0]
v_mov_b32 v[vgprValuC+105], v[vgprValuC+1] // copy MI out reg to vreg[1]
	;; [unrolled: 1-line block ×74, first 2 shown]

/* rC *= alpha batchElements=[(0, 0, 0, 0), (0, 0, 0, 1), (0, 0, 0, 2), (0, 0, 0, 3), (0, 1, 0, 0), (0, 1, 0, 1), (0, 1, 0, 2), (0, 1, 0, 3), (0, 2, 0, 0), (0, 2, 0, 1), (0, 2, 0, 2), (0, 2, 0, 3), (0, 3, 0, 0), (0, 3, 0, 1), (0, 3, 0, 2), (0, 3, 0, 3), (0, 4, 0, 0), (0, 4, 0, 1), (0, 4, 0, 2), (0, 4, 0, 3), (0, 5, 0, 0), (0, 5, 0, 1), (0, 5, 0, 2), (0, 5, 0, 3), (0, 6, 0, 0), (0, 6, 0, 1), (0, 6, 0, 2), (0, 6, 0, 3), (0, 7, 0, 0), (0, 7, 0, 1), (0, 7, 0, 2), (0, 7, 0, 3), (0, 8, 0, 0), (0, 8, 0, 1), (0, 8, 0, 2), (0, 8, 0, 3), (0, 9, 0, 0), (0, 9, 0, 1), (0, 9, 0, 2), (0, 9, 0, 3), (0, 10, 0, 0), (0, 10, 0, 1), (0, 10, 0, 2), (0, 10, 0, 3), (0, 11, 0, 0), (0, 11, 0, 1), (0, 11, 0, 2), (0, 11, 0, 3), (0, 0, 1, 0), (0, 0, 1, 1), (0, 0, 1, 2), (0, 0, 1, 3), (0, 1, 1, 0), (0, 1, 1, 1), (0, 1, 1, 2), (0, 1, 1, 3), (0, 2, 1, 0), (0, 2, 1, 1), (0, 2, 1, 2), (0, 2, 1, 3), (0, 3, 1, 0), (0, 3, 1, 1), (0, 3, 1, 2), (0, 3, 1, 3), (0, 4, 1, 0), (0, 4, 1, 1), (0, 4, 1, 2), (0, 4, 1, 3), (0, 5, 1, 0), (0, 5, 1, 1), (0, 5, 1, 2), (0, 5, 1, 3), (0, 6, 1, 0), (0, 6, 1, 1)] */

/* apply mask, calc new C and issue writes */
_buffer_store_b32 v103, v102, s[sgprSrdD:sgprSrdD+3], 0, offen, offset:0 // store D
_buffer_store_b32 v105, v104, s[sgprSrdD:sgprSrdD+3], 0, offen, offset:0 // store D
	;; [unrolled: 1-line block ×74, first 2 shown]
s_nop 0                                            // 1 wait state required when next inst writes vgprs held by previous dwordx4 store inst
/* optSingleColVgpr=0 optSharedColVgpr=0 optSGPRUsage=BufferLoad_Edge_Mask optSrdIncForRow=0 */

/******************************************/
/* Global Write Alpha Edge Batch #1 (d1,d0,vc1,vc0) = */
/*    (0,6,1,2:vw1); (0,6,1,3:vw1); (0,7,1,0:vw1); (0,7,1,1:vw1); (0,7,1,2:vw1); (0,7,1,3:vw1); (0,8,1,0:vw1); (0,8,1,1:vw1); (0,8,1,2:vw1); (0,8,1,3:vw1); (0,9,1,0:vw1); (0,9,1,1:vw1); (0,9,1,2:vw1); (0,9,1,3:vw1); (0,10,1,0:vw1); (0,10,1,1:vw1); (0,10,1,2:vw1); (0,10,1,3:vw1); (0,11,1,0:vw1); (0,11,1,1:vw1); (0,11,1,2:vw1); (0,11,1,3:vw1) */
/******************************************/

/* calc coords, apply mask, and issue loads (if necessary) */
/* (d1,vc1,d0,vc0)=(0,1,6,2) */
s_mov_b32 s58, 82                                  // coordOffset0 d0=6 vc0=2
_v_add_co_u32 v100, vcc, v96, s58                  // coord0.2: coord0 += d0*sg0*VW + vc0
v_cmp_lt_u32 s[58:59], v100, s[sgprSizeI]          // coord0 < size0
v_cmp_lt_u32 s[62:63], v97, s[sgprSizeJ]           // coord1 < size1
s_and_b64 s[62:63], s[58:59], s[62:63]             // in0 && in1
_v_add_lshl_u32 v102, v99, v100, 0x2               // scaleToBpe: accumulate d0 lower and *= bpe into Cin addr
v_cndmask_b32 v102, -1, v102, s[62:63]             // LDD clip if OOB. offset
/* (d1,vc1,d0,vc0)=(0,1,6,3) */
s_mov_b32 s58, 83                                  // coordOffset0 d0=6 vc0=3
_v_add_co_u32 v100, vcc, v96, s58                  // coord0.2: coord0 += d0*sg0*VW + vc0
v_cmp_lt_u32 s[58:59], v100, s[sgprSizeI]          // coord0 < size0
v_cmp_lt_u32 s[62:63], v97, s[sgprSizeJ]           // coord1 < size1
s_and_b64 s[62:63], s[58:59], s[62:63]             // in0 && in1
_v_add_lshl_u32 v104, v99, v100, 0x2               // scaleToBpe: accumulate d0 lower and *= bpe into Cin addr
v_cndmask_b32 v104, -1, v104, s[62:63]             // LDD clip if OOB. offset
	;; [unrolled: 8-line block ×6, first 2 shown]
/* (d1,vc1,d0,vc0)=(0,1,8,0) */
s_mov_b32 s58, 128                                 // coordOffset0 d0=8 vc0=0
_v_add_co_u32 v100, vcc, v96, s58                  // coord0.2: coord0 += d0*sg0*VW + vc0
v_cmp_lt_u32 s[58:59], v100, s[sgprSizeI]          // coord0 < size0
v_cmp_lt_u32 s[62:63], v97, s[sgprSizeJ]           // coord1 < size1
s_and_b64 s[62:63], s[58:59], s[62:63]             // in0 && in1
_v_add_lshl_u32 v114, v99, v100, 0x2               // scaleToBpe: accumulate d0 lower and *= bpe into Cin addr
v_cndmask_b32 v114, -1, v114, s[62:63]             // LDD clip if OOB. offset
/* (d1,vc1,d0,vc0)=(0,1,8,1) */
s_mov_b32 s58, 129                                 // coordOffset0 d0=8 vc0=1
_v_add_co_u32 v100, vcc, v96, s58                  // coord0.2: coord0 += d0*sg0*VW + vc0
v_cmp_lt_u32 s[58:59], v100, s[sgprSizeI]          // coord0 < size0
v_cmp_lt_u32 s[62:63], v97, s[sgprSizeJ]           // coord1 < size1
s_and_b64 s[62:63], s[58:59], s[62:63]             // in0 && in1
_v_add_lshl_u32 v116, v99, v100, 0x2               // scaleToBpe: accumulate d0 lower and *= bpe into Cin addr
v_cndmask_b32 v116, -1, v116, s[62:63]             // LDD clip if OOB. offset
	;; [unrolled: 8-line block ×16, first 2 shown]
v_mov_b32 v[vgprValuC+103], v[vgprValuC+74] // copy MI out reg to vreg[74]
v_mov_b32 v[vgprValuC+105], v[vgprValuC+75] // copy MI out reg to vreg[75]
v_mov_b32 v[vgprValuC+107], v[vgprValuC+76] // copy MI out reg to vreg[76]
v_mov_b32 v[vgprValuC+109], v[vgprValuC+77] // copy MI out reg to vreg[77]
v_mov_b32 v[vgprValuC+111], v[vgprValuC+78] // copy MI out reg to vreg[78]
v_mov_b32 v[vgprValuC+113], v[vgprValuC+79] // copy MI out reg to vreg[79]
v_mov_b32 v[vgprValuC+115], v[vgprValuC+80] // copy MI out reg to vreg[80]
v_mov_b32 v[vgprValuC+117], v[vgprValuC+81] // copy MI out reg to vreg[81]
v_mov_b32 v[vgprValuC+119], v[vgprValuC+82] // copy MI out reg to vreg[82]
v_mov_b32 v[vgprValuC+121], v[vgprValuC+83] // copy MI out reg to vreg[83]
v_mov_b32 v[vgprValuC+123], v[vgprValuC+84] // copy MI out reg to vreg[84]
v_mov_b32 v[vgprValuC+125], v[vgprValuC+85] // copy MI out reg to vreg[85]
v_mov_b32 v[vgprValuC+127], v[vgprValuC+86] // copy MI out reg to vreg[86]
v_mov_b32 v[vgprValuC+129], v[vgprValuC+87] // copy MI out reg to vreg[87]
v_mov_b32 v[vgprValuC+131], v[vgprValuC+88] // copy MI out reg to vreg[88]
v_mov_b32 v[vgprValuC+133], v[vgprValuC+89] // copy MI out reg to vreg[89]
v_mov_b32 v[vgprValuC+135], v[vgprValuC+90] // copy MI out reg to vreg[90]
v_mov_b32 v[vgprValuC+137], v[vgprValuC+91] // copy MI out reg to vreg[91]
v_mov_b32 v[vgprValuC+139], v[vgprValuC+92] // copy MI out reg to vreg[92]
v_mov_b32 v[vgprValuC+141], v[vgprValuC+93] // copy MI out reg to vreg[93]
v_mov_b32 v[vgprValuC+143], v[vgprValuC+94] // copy MI out reg to vreg[94]
v_mov_b32 v[vgprValuC+145], v[vgprValuC+95] // copy MI out reg to vreg[95]

/* rC *= alpha batchElements=[(0, 6, 1, 2), (0, 6, 1, 3), (0, 7, 1, 0), (0, 7, 1, 1), (0, 7, 1, 2), (0, 7, 1, 3), (0, 8, 1, 0), (0, 8, 1, 1), (0, 8, 1, 2), (0, 8, 1, 3), (0, 9, 1, 0), (0, 9, 1, 1), (0, 9, 1, 2), (0, 9, 1, 3), (0, 10, 1, 0), (0, 10, 1, 1), (0, 10, 1, 2), (0, 10, 1, 3), (0, 11, 1, 0), (0, 11, 1, 1), (0, 11, 1, 2), (0, 11, 1, 3)] */

/* apply mask, calc new C and issue writes */
_buffer_store_b32 v103, v102, s[sgprSrdD:sgprSrdD+3], 0, offen, offset:0 // store D
_buffer_store_b32 v105, v104, s[sgprSrdD:sgprSrdD+3], 0, offen, offset:0 // store D
	;; [unrolled: 1-line block ×22, first 2 shown]
s_nop 0                                            // 1 wait state required when next inst writes vgprs held by previous dwordx4 store inst
s_branch label_GW_End_251                          // jump to end
label_GW_End_251:

label_0256:  /// KernelEnd
s_endpgm                                           // Kernel End

